;; amdgpu-corpus repo=ROCm/rocFFT kind=compiled arch=gfx906 opt=O3
	.text
	.amdgcn_target "amdgcn-amd-amdhsa--gfx906"
	.amdhsa_code_object_version 6
	.protected	bluestein_single_fwd_len312_dim1_sp_op_CI_CI ; -- Begin function bluestein_single_fwd_len312_dim1_sp_op_CI_CI
	.globl	bluestein_single_fwd_len312_dim1_sp_op_CI_CI
	.p2align	8
	.type	bluestein_single_fwd_len312_dim1_sp_op_CI_CI,@function
bluestein_single_fwd_len312_dim1_sp_op_CI_CI: ; @bluestein_single_fwd_len312_dim1_sp_op_CI_CI
; %bb.0:
	s_load_dwordx4 s[0:3], s[4:5], 0x28
	v_mul_u32_u24_e32 v1, 0x9d9, v0
	v_lshrrev_b32_e32 v1, 16, v1
	v_lshl_add_u32 v44, s6, 1, v1
	v_mov_b32_e32 v45, 0
	s_waitcnt lgkmcnt(0)
	v_cmp_gt_u64_e32 vcc, s[0:1], v[44:45]
	s_and_saveexec_b64 s[0:1], vcc
	s_cbranch_execz .LBB0_15
; %bb.1:
	s_load_dwordx2 s[12:13], s[4:5], 0x0
	s_load_dwordx2 s[14:15], s[4:5], 0x38
	v_mul_lo_u16_e32 v2, 26, v1
	v_sub_u16_e32 v65, v0, v2
	v_and_b32_e32 v0, 1, v1
	v_mov_b32_e32 v1, 0x138
	v_cmp_eq_u32_e32 vcc, 1, v0
	v_cndmask_b32_e32 v67, 0, v1, vcc
	v_cmp_gt_u16_e32 vcc, 24, v65
	v_lshlrev_b32_e32 v66, 3, v65
	v_lshlrev_b32_e32 v68, 3, v67
	s_and_saveexec_b64 s[6:7], vcc
	s_cbranch_execz .LBB0_3
; %bb.2:
	s_load_dwordx2 s[0:1], s[4:5], 0x18
	v_or_b32_e32 v18, 0x60, v65
	v_mov_b32_e32 v39, 0x180
	s_waitcnt lgkmcnt(0)
	s_load_dwordx4 s[8:11], s[0:1], 0x0
	s_waitcnt lgkmcnt(0)
	v_mad_u64_u32 v[0:1], s[0:1], s10, v44, 0
	v_mad_u64_u32 v[2:3], s[0:1], s8, v65, 0
	s_mul_i32 s10, s9, 0x180
	v_mad_u64_u32 v[4:5], s[0:1], s11, v44, v[1:2]
	v_mad_u64_u32 v[5:6], s[0:1], s9, v65, v[3:4]
	v_mov_b32_e32 v1, v4
	v_lshlrev_b64 v[0:1], 3, v[0:1]
	v_mov_b32_e32 v3, v5
	v_mov_b32_e32 v6, s3
	v_lshlrev_b64 v[2:3], 3, v[2:3]
	v_add_co_u32_e64 v43, s[0:1], s2, v0
	v_addc_co_u32_e64 v58, s[0:1], v6, v1, s[0:1]
	v_add_co_u32_e64 v0, s[0:1], v43, v2
	v_addc_co_u32_e64 v1, s[0:1], v58, v3, s[0:1]
	s_mul_i32 s0, s9, 0xc0
	s_mul_hi_u32 s1, s8, 0xc0
	s_add_i32 s3, s1, s0
	s_mul_i32 s2, s8, 0xc0
	v_mov_b32_e32 v3, s3
	v_add_co_u32_e64 v2, s[0:1], s2, v0
	v_addc_co_u32_e64 v3, s[0:1], v1, v3, s[0:1]
	v_mov_b32_e32 v5, s3
	v_add_co_u32_e64 v4, s[0:1], s2, v2
	v_addc_co_u32_e64 v5, s[0:1], v3, v5, s[0:1]
	;; [unrolled: 3-line block ×3, first 2 shown]
	v_mad_u64_u32 v[8:9], s[0:1], s8, v18, 0
	global_load_dwordx2 v[10:11], v[0:1], off
	global_load_dwordx2 v[12:13], v[2:3], off
	;; [unrolled: 1-line block ×4, first 2 shown]
	v_mad_u64_u32 v[5:6], s[0:1], s8, v39, v[6:7]
	v_mov_b32_e32 v0, v9
	v_mad_u64_u32 v[0:1], s[0:1], s9, v18, v[0:1]
	global_load_dwordx2 v[1:2], v66, s[12:13]
	global_load_dwordx2 v[3:4], v66, s[12:13] offset:192
	global_load_dwordx2 v[18:19], v66, s[12:13] offset:384
	;; [unrolled: 1-line block ×3, first 2 shown]
	v_add_u32_e32 v6, s10, v6
	v_mov_b32_e32 v9, v0
	v_lshlrev_b64 v[8:9], 3, v[8:9]
	global_load_dwordx2 v[22:23], v[5:6], off
	v_add_co_u32_e64 v7, s[0:1], v43, v8
	v_addc_co_u32_e64 v8, s[0:1], v58, v9, s[0:1]
	global_load_dwordx2 v[7:8], v[7:8], off
	v_mov_b32_e32 v0, s3
	v_add_co_u32_e64 v5, s[0:1], s2, v5
	v_or_b32_e32 v9, 0xc0, v65
	v_addc_co_u32_e64 v6, s[0:1], v6, v0, s[0:1]
	v_mad_u64_u32 v[26:27], s[0:1], s8, v9, 0
	global_load_dwordx2 v[24:25], v[5:6], off
	v_add_co_u32_e64 v5, s[0:1], s2, v5
	v_addc_co_u32_e64 v6, s[0:1], v6, v0, s[0:1]
	v_mov_b32_e32 v0, v27
	global_load_dwordx2 v[28:29], v[5:6], off
	v_mad_u64_u32 v[5:6], s[0:1], s8, v39, v[5:6]
	v_add_u32_e32 v6, s10, v6
	s_waitcnt vmcnt(7)
	v_mad_u64_u32 v[30:31], s[0:1], s9, v9, v[0:1]
	global_load_dwordx2 v[31:32], v66, s[12:13] offset:768
	global_load_dwordx2 v[33:34], v66, s[12:13] offset:960
	;; [unrolled: 1-line block ×4, first 2 shown]
	v_mov_b32_e32 v0, s3
	v_mov_b32_e32 v27, v30
	v_lshlrev_b64 v[26:27], 3, v[26:27]
	v_or_b32_e32 v9, 0x120, v65
	v_add_co_u32_e64 v26, s[0:1], v43, v26
	v_addc_co_u32_e64 v27, s[0:1], v58, v27, s[0:1]
	global_load_dwordx2 v[39:40], v[26:27], off
	global_load_dwordx2 v[41:42], v66, s[12:13] offset:1536
	global_load_dwordx2 v[49:50], v66, s[12:13] offset:1728
	s_nop 0
	global_load_dwordx2 v[26:27], v[5:6], off
	v_add_co_u32_e64 v5, s[0:1], s2, v5
	v_addc_co_u32_e64 v6, s[0:1], v6, v0, s[0:1]
	v_mad_u64_u32 v[47:48], s[0:1], s8, v9, 0
	global_load_dwordx2 v[45:46], v[5:6], off
	v_add_co_u32_e64 v5, s[0:1], s2, v5
	v_addc_co_u32_e64 v6, s[0:1], v6, v0, s[0:1]
	v_mov_b32_e32 v0, v48
	v_mad_u64_u32 v[51:52], s[0:1], s9, v9, v[0:1]
	global_load_dwordx2 v[52:53], v[5:6], off
	global_load_dwordx2 v[54:55], v66, s[12:13] offset:1920
	global_load_dwordx2 v[56:57], v66, s[12:13] offset:2112
	v_mul_f32_e32 v0, v11, v2
	v_mov_b32_e32 v48, v51
	v_lshlrev_b64 v[5:6], 3, v[47:48]
	v_mul_f32_e32 v2, v10, v2
	v_add_co_u32_e64 v5, s[0:1], v43, v5
	v_addc_co_u32_e64 v6, s[0:1], v58, v6, s[0:1]
	global_load_dwordx2 v[47:48], v[5:6], off
	global_load_dwordx2 v[58:59], v66, s[12:13] offset:2304
	v_fmac_f32_e32 v0, v10, v1
	v_fma_f32 v1, v11, v1, -v2
	v_lshl_add_u32 v2, v65, 3, v68
	ds_write_b64 v2, v[0:1]
	s_waitcnt vmcnt(20)
	v_mul_f32_e32 v0, v13, v4
	v_mul_f32_e32 v1, v12, v4
	v_fmac_f32_e32 v0, v12, v3
	v_fma_f32 v1, v13, v3, -v1
	s_waitcnt vmcnt(19)
	v_mul_f32_e32 v2, v15, v19
	v_mul_f32_e32 v3, v14, v19
	v_add_u32_e32 v5, v68, v66
	v_fmac_f32_e32 v2, v14, v18
	v_fma_f32 v3, v15, v18, -v3
	ds_write2_b64 v5, v[0:1], v[2:3] offset0:24 offset1:48
	s_waitcnt vmcnt(18)
	v_mul_f32_e32 v0, v17, v21
	v_mul_f32_e32 v1, v16, v21
	v_fmac_f32_e32 v0, v16, v20
	v_fma_f32 v1, v17, v20, -v1
	v_add_u32_e32 v4, 0x800, v5
	s_waitcnt vmcnt(13)
	v_mul_f32_e32 v2, v8, v32
	v_mul_f32_e32 v3, v7, v32
	v_fmac_f32_e32 v2, v7, v31
	v_fma_f32 v3, v8, v31, -v3
	ds_write2_b64 v5, v[0:1], v[2:3] offset0:72 offset1:96
	s_waitcnt vmcnt(12)
	v_mul_f32_e32 v0, v23, v34
	v_mul_f32_e32 v1, v22, v34
	s_waitcnt vmcnt(11)
	v_mul_f32_e32 v2, v25, v36
	v_mul_f32_e32 v3, v24, v36
	v_fmac_f32_e32 v0, v22, v33
	v_fma_f32 v1, v23, v33, -v1
	v_fmac_f32_e32 v2, v24, v35
	v_fma_f32 v3, v25, v35, -v3
	ds_write2_b64 v5, v[0:1], v[2:3] offset0:120 offset1:144
	s_waitcnt vmcnt(10)
	v_mul_f32_e32 v0, v29, v38
	v_mul_f32_e32 v1, v28, v38
	s_waitcnt vmcnt(8)
	v_mul_f32_e32 v2, v40, v42
	v_mul_f32_e32 v3, v39, v42
	v_fmac_f32_e32 v0, v28, v37
	v_fma_f32 v1, v29, v37, -v1
	v_fmac_f32_e32 v2, v39, v41
	v_fma_f32 v3, v40, v41, -v3
	ds_write2_b64 v5, v[0:1], v[2:3] offset0:168 offset1:192
	s_waitcnt vmcnt(6)
	v_mul_f32_e32 v0, v27, v50
	v_mul_f32_e32 v1, v26, v50
	v_fmac_f32_e32 v0, v26, v49
	v_fma_f32 v1, v27, v49, -v1
	s_waitcnt vmcnt(3)
	v_mul_f32_e32 v2, v46, v55
	v_mul_f32_e32 v3, v45, v55
	v_fmac_f32_e32 v2, v45, v54
	v_fma_f32 v3, v46, v54, -v3
	ds_write2_b64 v5, v[0:1], v[2:3] offset0:216 offset1:240
	s_waitcnt vmcnt(2)
	v_mul_f32_e32 v0, v53, v57
	v_mul_f32_e32 v1, v52, v57
	v_fmac_f32_e32 v0, v52, v56
	v_fma_f32 v1, v53, v56, -v1
	s_waitcnt vmcnt(0)
	v_mul_f32_e32 v2, v48, v59
	v_mul_f32_e32 v3, v47, v59
	v_fmac_f32_e32 v2, v47, v58
	v_fma_f32 v3, v48, v58, -v3
	ds_write2_b64 v4, v[0:1], v[2:3] offset0:8 offset1:32
.LBB0_3:
	s_or_b64 exec, exec, s[6:7]
	s_load_dwordx2 s[0:1], s[4:5], 0x20
	s_load_dwordx2 s[2:3], s[4:5], 0x8
	v_mov_b32_e32 v0, 0
	v_mov_b32_e32 v1, 0
	s_waitcnt lgkmcnt(0)
	; wave barrier
	s_waitcnt lgkmcnt(0)
                                        ; implicit-def: $vgpr6
                                        ; implicit-def: $vgpr14
                                        ; implicit-def: $vgpr24
                                        ; implicit-def: $vgpr10
                                        ; implicit-def: $vgpr18
                                        ; implicit-def: $vgpr22
	s_and_saveexec_b64 s[4:5], vcc
	s_cbranch_execz .LBB0_5
; %bb.4:
	v_lshl_add_u32 v24, v67, 3, v66
	ds_read2_b64 v[0:3], v24 offset1:24
	ds_read2_b64 v[20:23], v24 offset0:48 offset1:72
	ds_read2_b64 v[16:19], v24 offset0:96 offset1:120
	;; [unrolled: 1-line block ×4, first 2 shown]
	v_add_u32_e32 v12, 0x400, v24
	ds_read2_b64 v[12:15], v12 offset0:112 offset1:136
	ds_read_b64 v[24:25], v24 offset:2304
.LBB0_5:
	s_or_b64 exec, exec, s[4:5]
	s_waitcnt lgkmcnt(0)
	v_sub_f32_e32 v51, v3, v25
	v_mul_f32_e32 v40, 0xbeedf032, v51
	v_sub_f32_e32 v54, v21, v15
	v_add_f32_e32 v28, v24, v2
	v_sub_f32_e32 v57, v2, v24
	v_mov_b32_e32 v26, v40
	v_mul_f32_e32 v41, 0xbf52af12, v54
	v_add_f32_e32 v30, v25, v3
	s_mov_b32 s6, 0x3f62ad3f
	v_mul_f32_e32 v42, 0xbeedf032, v57
	v_fmac_f32_e32 v26, 0x3f62ad3f, v28
	v_add_f32_e32 v29, v14, v20
	v_sub_f32_e32 v58, v20, v14
	v_mov_b32_e32 v31, v41
	v_add_f32_e32 v26, v26, v0
	v_fma_f32 v27, v30, s6, -v42
	v_add_f32_e32 v32, v15, v21
	s_mov_b32 s7, 0x3f116cb1
	v_mul_f32_e32 v48, 0xbf52af12, v58
	v_fmac_f32_e32 v31, 0x3f116cb1, v29
	v_sub_f32_e32 v56, v23, v13
	v_add_f32_e32 v27, v27, v1
	v_add_f32_e32 v26, v31, v26
	v_fma_f32 v31, v32, s7, -v48
	v_mul_f32_e32 v43, 0xbf7e222b, v56
	v_add_f32_e32 v27, v31, v27
	v_add_f32_e32 v31, v12, v22
	v_sub_f32_e32 v61, v22, v12
	v_mov_b32_e32 v33, v43
	v_add_f32_e32 v34, v13, v23
	s_mov_b32 s8, 0x3df6dbef
	v_mul_f32_e32 v49, 0xbf7e222b, v61
	v_fmac_f32_e32 v33, 0x3df6dbef, v31
	v_sub_f32_e32 v59, v17, v11
	v_add_f32_e32 v26, v33, v26
	v_fma_f32 v33, v34, s8, -v49
	v_mul_f32_e32 v47, 0xbf6f5d39, v59
	v_add_f32_e32 v27, v33, v27
	v_add_f32_e32 v33, v10, v16
	v_sub_f32_e32 v63, v16, v10
	v_mov_b32_e32 v35, v47
	v_add_f32_e32 v36, v11, v17
	s_mov_b32 s9, 0xbeb58ec6
	v_mul_f32_e32 v52, 0xbf6f5d39, v63
	v_fmac_f32_e32 v35, 0xbeb58ec6, v33
	v_sub_f32_e32 v62, v19, v9
	;; [unrolled: 12-line block ×3, first 2 shown]
	v_add_f32_e32 v26, v37, v26
	v_fma_f32 v37, v38, s10, -v55
	v_mul_f32_e32 v53, 0xbe750f2a, v64
	v_add_f32_e32 v27, v37, v27
	v_add_f32_e32 v37, v6, v4
	v_mov_b32_e32 v39, v53
	v_fmac_f32_e32 v39, 0xbf788fa5, v37
	v_sub_f32_e32 v71, v4, v6
	s_mov_b32 s11, 0xbf788fa5
	v_add_f32_e32 v45, v39, v26
	v_add_f32_e32 v39, v7, v5
	v_mul_f32_e32 v60, 0xbe750f2a, v71
	v_fma_f32 v26, v39, s11, -v60
	v_add_f32_e32 v46, v26, v27
	v_mul_lo_u16_e32 v69, 13, v65
	s_waitcnt lgkmcnt(0)
	; wave barrier
	s_and_saveexec_b64 s[4:5], vcc
	s_cbranch_execz .LBB0_7
; %bb.6:
	v_mul_f32_e32 v72, 0x3df6dbef, v30
	v_mov_b32_e32 v26, v72
	v_mul_f32_e32 v74, 0xbf788fa5, v32
	v_fmac_f32_e32 v26, 0x3f7e222b, v57
	v_mov_b32_e32 v27, v74
	v_add_f32_e32 v26, v26, v1
	v_fmac_f32_e32 v27, 0x3e750f2a, v58
	v_mul_f32_e32 v75, 0xbeb58ec6, v34
	v_add_f32_e32 v26, v27, v26
	v_mov_b32_e32 v27, v75
	v_fmac_f32_e32 v27, 0xbf6f5d39, v61
	v_mul_f32_e32 v76, 0x3f62ad3f, v36
	v_add_f32_e32 v26, v27, v26
	v_mov_b32_e32 v27, v76
	;; [unrolled: 4-line block ×5, first 2 shown]
	v_mul_f32_e32 v79, 0xbe750f2a, v54
	v_fmac_f32_e32 v26, 0x3df6dbef, v28
	v_mov_b32_e32 v80, v79
	v_add_f32_e32 v26, v26, v0
	v_fmac_f32_e32 v80, 0xbf788fa5, v29
	v_add_f32_e32 v26, v80, v26
	v_mul_f32_e32 v80, 0x3f6f5d39, v56
	v_mov_b32_e32 v81, v80
	v_fmac_f32_e32 v81, 0xbeb58ec6, v31
	v_add_f32_e32 v26, v81, v26
	v_add_f32_e32 v2, v2, v0
	v_mul_f32_e32 v81, 0x3eedf032, v59
	v_add_f32_e32 v3, v3, v1
	v_add_f32_e32 v2, v20, v2
	v_mov_b32_e32 v20, v81
	v_mul_f32_e32 v82, 0xbf52af12, v62
	v_add_f32_e32 v3, v21, v3
	v_fmac_f32_e32 v20, 0x3f62ad3f, v33
	v_mov_b32_e32 v21, v82
	v_add_f32_e32 v20, v20, v26
	v_fmac_f32_e32 v21, 0x3f116cb1, v35
	v_mul_f32_e32 v83, 0xbf29c268, v64
	v_add_f32_e32 v20, v21, v20
	v_mov_b32_e32 v21, v83
	v_add_f32_e32 v2, v22, v2
	v_fmac_f32_e32 v21, 0xbf3f9e67, v37
	v_mul_f32_e32 v22, 0xbeb58ec6, v30
	v_add_f32_e32 v3, v23, v3
	v_add_f32_e32 v26, v21, v20
	v_mov_b32_e32 v20, v22
	v_add_f32_e32 v2, v16, v2
	v_mul_f32_e32 v23, 0xbf3f9e67, v32
	v_fmac_f32_e32 v20, 0x3f6f5d39, v57
	v_add_f32_e32 v3, v17, v3
	v_add_f32_e32 v85, v18, v2
	v_mov_b32_e32 v2, v23
	v_mul_f32_e32 v86, 0x3f62ad3f, v34
	v_add_f32_e32 v20, v20, v1
	v_add_f32_e32 v84, v19, v3
	v_fmac_f32_e32 v2, 0xbf29c268, v58
	v_mov_b32_e32 v3, v86
	v_add_f32_e32 v2, v2, v20
	v_fmac_f32_e32 v3, 0xbeedf032, v61
	v_mul_f32_e32 v87, 0x3df6dbef, v36
	v_add_f32_e32 v2, v3, v2
	v_mov_b32_e32 v3, v87
	v_fmac_f32_e32 v3, 0x3f7e222b, v63
	v_mul_f32_e32 v88, 0xbf788fa5, v38
	v_add_f32_e32 v2, v3, v2
	v_mov_b32_e32 v3, v88
	;; [unrolled: 4-line block ×3, first 2 shown]
	v_mul_f32_e32 v90, 0x3f29c268, v54
	v_fmac_f32_e32 v3, 0xbeb58ec6, v28
	v_mov_b32_e32 v16, v90
	v_add_f32_e32 v3, v3, v0
	v_fmac_f32_e32 v16, 0xbf3f9e67, v29
	v_mul_f32_e32 v91, 0x3eedf032, v56
	v_add_f32_e32 v3, v16, v3
	v_mov_b32_e32 v16, v91
	v_fmac_f32_e32 v16, 0x3f62ad3f, v31
	v_mul_f32_e32 v92, 0xbf7e222b, v59
	v_add_f32_e32 v3, v16, v3
	v_mov_b32_e32 v16, v92
	v_fmac_f32_e32 v16, 0x3df6dbef, v33
	v_mul_f32_e32 v93, 0x3e750f2a, v62
	v_add_f32_e32 v3, v16, v3
	v_mov_b32_e32 v16, v93
	v_fmac_f32_e32 v16, 0xbf788fa5, v35
	v_mul_f32_e32 v94, 0x3f116cb1, v39
	v_add_f32_e32 v16, v16, v3
	v_mov_b32_e32 v3, v94
	v_fmac_f32_e32 v3, 0xbf52af12, v71
	v_mul_f32_e32 v95, 0x3f52af12, v64
	v_add_f32_e32 v3, v3, v2
	v_mov_b32_e32 v2, v95
	v_fmac_f32_e32 v2, 0x3f116cb1, v37
	v_mul_f32_e32 v20, 0xbf3f9e67, v30
	v_add_f32_e32 v2, v2, v16
	v_mov_b32_e32 v16, v20
	v_mul_f32_e32 v21, 0x3df6dbef, v32
	v_fmac_f32_e32 v16, 0x3f29c268, v57
	v_mov_b32_e32 v17, v21
	v_add_f32_e32 v16, v16, v1
	v_fmac_f32_e32 v17, 0xbf7e222b, v58
	v_mul_f32_e32 v96, 0x3f116cb1, v34
	v_add_f32_e32 v16, v17, v16
	v_mov_b32_e32 v17, v96
	v_fmac_f32_e32 v17, 0x3f52af12, v61
	v_mul_f32_e32 v97, 0xbf788fa5, v36
	v_add_f32_e32 v16, v17, v16
	v_mov_b32_e32 v17, v97
	;; [unrolled: 4-line block ×4, first 2 shown]
	v_mul_f32_e32 v100, 0x3f7e222b, v54
	v_fmac_f32_e32 v17, 0xbf3f9e67, v28
	v_mov_b32_e32 v18, v100
	v_add_f32_e32 v17, v17, v0
	v_fmac_f32_e32 v18, 0x3df6dbef, v29
	v_mul_f32_e32 v101, 0xbf52af12, v56
	v_add_f32_e32 v17, v18, v17
	v_mov_b32_e32 v18, v101
	v_fmac_f32_e32 v18, 0x3f116cb1, v31
	v_mul_f32_e32 v102, 0x3e750f2a, v59
	v_add_f32_e32 v17, v18, v17
	v_mov_b32_e32 v18, v102
	v_fmac_f32_e32 v18, 0xbf788fa5, v33
	v_mul_f32_e32 v103, 0x3eedf032, v62
	v_fmac_f32_e32 v72, 0xbf7e222b, v57
	v_add_f32_e32 v17, v18, v17
	v_mov_b32_e32 v18, v103
	v_add_f32_e32 v72, v72, v1
	v_fmac_f32_e32 v74, 0xbe750f2a, v58
	v_fmac_f32_e32 v18, 0x3f62ad3f, v35
	v_mul_f32_e32 v104, 0xbeb58ec6, v39
	v_add_f32_e32 v72, v74, v72
	v_fmac_f32_e32 v75, 0x3f6f5d39, v61
	v_fma_f32 v74, v28, s8, -v78
	v_add_f32_e32 v18, v18, v17
	v_mov_b32_e32 v17, v104
	v_add_f32_e32 v72, v75, v72
	v_add_f32_e32 v74, v74, v0
	v_fma_f32 v75, v29, s11, -v79
	v_fmac_f32_e32 v17, 0x3f6f5d39, v71
	v_mul_f32_e32 v105, 0xbf6f5d39, v64
	v_fmac_f32_e32 v76, 0x3eedf032, v63
	v_add_f32_e32 v74, v75, v74
	v_fma_f32 v75, v31, s9, -v80
	v_add_f32_e32 v17, v17, v16
	v_mov_b32_e32 v16, v105
	v_add_f32_e32 v72, v76, v72
	v_fmac_f32_e32 v77, 0xbf52af12, v70
	v_add_f32_e32 v74, v75, v74
	v_fma_f32 v75, v33, s6, -v81
	v_fmac_f32_e32 v16, 0xbeb58ec6, v37
	v_mul_f32_e32 v106, 0xbe750f2a, v57
	v_add_f32_e32 v72, v77, v72
	v_add_f32_e32 v74, v75, v74
	v_fma_f32 v75, v35, s7, -v82
	v_fmac_f32_e32 v73, 0xbf29c268, v71
	v_add_f32_e32 v16, v16, v18
	v_mov_b32_e32 v18, v106
	v_mul_f32_e32 v107, 0x3eedf032, v58
	v_add_f32_e32 v74, v75, v74
	v_add_f32_e32 v73, v73, v72
	v_fma_f32 v72, v37, s10, -v83
	v_fmac_f32_e32 v18, 0xbf788fa5, v30
	v_mov_b32_e32 v19, v107
	v_add_f32_e32 v72, v72, v74
	v_mul_f32_e32 v74, 0xbf52af12, v57
	v_add_f32_e32 v18, v18, v1
	v_fmac_f32_e32 v19, 0x3f62ad3f, v32
	v_mul_f32_e32 v108, 0xbf29c268, v61
	v_fmac_f32_e32 v20, 0xbf29c268, v57
	v_fmac_f32_e32 v21, 0x3f7e222b, v58
	;; [unrolled: 1-line block ×4, first 2 shown]
	v_mov_b32_e32 v57, v74
	v_mul_f32_e32 v58, 0xbf6f5d39, v58
	v_add_f32_e32 v18, v19, v18
	v_mov_b32_e32 v19, v108
	v_fmac_f32_e32 v57, 0x3f116cb1, v30
	v_mov_b32_e32 v75, v58
	v_fmac_f32_e32 v19, 0xbf3f9e67, v34
	v_mul_f32_e32 v109, 0x3f52af12, v63
	v_fmac_f32_e32 v96, 0xbf52af12, v61
	v_fmac_f32_e32 v86, 0x3eedf032, v61
	v_add_f32_e32 v57, v57, v1
	v_fmac_f32_e32 v75, 0xbeb58ec6, v32
	v_mul_f32_e32 v61, 0xbe750f2a, v61
	v_add_f32_e32 v18, v19, v18
	v_mov_b32_e32 v19, v109
	v_add_f32_e32 v57, v75, v57
	v_mov_b32_e32 v75, v61
	v_fmac_f32_e32 v19, 0x3f116cb1, v36
	v_mul_f32_e32 v110, 0xbf6f5d39, v70
	v_fmac_f32_e32 v97, 0x3e750f2a, v63
	v_fmac_f32_e32 v87, 0xbf7e222b, v63
	v_fmac_f32_e32 v75, 0xbf788fa5, v34
	v_mul_f32_e32 v63, 0x3f29c268, v63
	v_add_f32_e32 v18, v19, v18
	v_mov_b32_e32 v19, v110
	v_add_f32_e32 v57, v75, v57
	v_mov_b32_e32 v75, v63
	v_fmac_f32_e32 v19, 0xbeb58ec6, v38
	v_mul_f32_e32 v111, 0xbe750f2a, v51
	v_fmac_f32_e32 v98, 0x3eedf032, v70
	v_fmac_f32_e32 v88, 0x3e750f2a, v70
	;; [unrolled: 1-line block ×3, first 2 shown]
	v_mul_f32_e32 v70, 0x3f7e222b, v70
	v_add_f32_e32 v18, v19, v18
	v_fma_f32 v19, v28, s11, -v111
	v_mul_f32_e32 v112, 0x3eedf032, v54
	v_add_f32_e32 v57, v75, v57
	v_mov_b32_e32 v75, v70
	v_add_f32_e32 v19, v19, v0
	v_fma_f32 v113, v29, s6, -v112
	v_fmac_f32_e32 v75, 0x3df6dbef, v38
	v_mul_f32_e32 v51, 0xbf52af12, v51
	v_add_f32_e32 v19, v113, v19
	v_mul_f32_e32 v113, 0xbf29c268, v56
	v_add_f32_e32 v57, v75, v57
	v_fma_f32 v75, v28, s7, -v51
	v_mul_f32_e32 v54, 0xbf6f5d39, v54
	v_fma_f32 v114, v31, s10, -v113
	v_add_f32_e32 v75, v75, v0
	v_fma_f32 v76, v29, s9, -v54
	v_add_f32_e32 v19, v114, v19
	v_mul_f32_e32 v114, 0x3f52af12, v59
	v_add_f32_e32 v75, v76, v75
	v_mul_f32_e32 v76, 0xbe750f2a, v56
	v_fma_f32 v115, v33, s7, -v114
	v_fma_f32 v56, v31, s11, -v76
	v_mul_f32_e32 v59, 0x3f29c268, v59
	v_add_f32_e32 v19, v115, v19
	v_mul_f32_e32 v115, 0xbf6f5d39, v62
	v_add_f32_e32 v56, v56, v75
	v_fma_f32 v75, v33, s10, -v59
	v_mul_f32_e32 v62, 0x3f7e222b, v62
	v_mul_f32_e32 v117, 0x3f7e222b, v71
	v_fmac_f32_e32 v104, 0xbf6f5d39, v71
	v_fmac_f32_e32 v94, 0x3f52af12, v71
	v_add_f32_e32 v56, v75, v56
	v_fma_f32 v75, v35, s8, -v62
	v_mul_f32_e32 v71, 0x3eedf032, v71
	v_add_f32_e32 v56, v75, v56
	v_mov_b32_e32 v75, v71
	v_mul_f32_e32 v118, 0x3f7e222b, v64
	v_fmac_f32_e32 v75, 0x3f62ad3f, v39
	v_mul_f32_e32 v64, 0x3eedf032, v64
	v_add_f32_e32 v57, v75, v57
	v_fma_f32 v75, v37, s6, -v64
	v_add_f32_e32 v56, v75, v56
	v_mul_f32_e32 v75, 0x3f62ad3f, v30
	v_add_f32_e32 v42, v42, v75
	v_mul_f32_e32 v75, 0x3f116cb1, v32
	v_add_f32_e32 v48, v48, v75
	v_add_f32_e32 v42, v42, v1
	;; [unrolled: 1-line block ×3, first 2 shown]
	v_mul_f32_e32 v48, 0x3df6dbef, v34
	v_add_f32_e32 v48, v49, v48
	v_mul_f32_e32 v49, 0x3f62ad3f, v28
	v_add_f32_e32 v4, v4, v85
	v_sub_f32_e32 v40, v49, v40
	v_mul_f32_e32 v49, 0x3f116cb1, v29
	v_add_f32_e32 v5, v5, v84
	v_add_f32_e32 v4, v6, v4
	v_fma_f32 v6, v30, s11, -v106
	v_sub_f32_e32 v41, v49, v41
	v_add_f32_e32 v40, v40, v0
	v_add_f32_e32 v5, v7, v5
	;; [unrolled: 1-line block ×3, first 2 shown]
	v_fma_f32 v7, v32, s6, -v107
	v_add_f32_e32 v40, v41, v40
	v_mul_f32_e32 v41, 0x3df6dbef, v31
	v_add_f32_e32 v6, v7, v6
	v_fma_f32 v7, v34, s10, -v108
	v_sub_f32_e32 v41, v41, v43
	v_add_f32_e32 v6, v7, v6
	v_fma_f32 v7, v36, s7, -v109
	v_add_f32_e32 v20, v20, v1
	v_add_f32_e32 v22, v22, v1
	;; [unrolled: 1-line block ×3, first 2 shown]
	v_mul_f32_e32 v48, 0xbeb58ec6, v36
	v_add_f32_e32 v40, v41, v40
	v_mul_f32_e32 v41, 0xbeb58ec6, v33
	v_add_f32_e32 v4, v8, v4
	v_add_f32_e32 v6, v7, v6
	v_fma_f32 v7, v38, s9, -v110
	v_fma_f32 v8, v30, s7, -v74
	v_add_f32_e32 v20, v21, v20
	v_fma_f32 v21, v28, s10, -v99
	v_add_f32_e32 v22, v23, v22
	;; [unrolled: 2-line block ×3, first 2 shown]
	v_sub_f32_e32 v41, v41, v47
	v_add_f32_e32 v6, v7, v6
	v_fma_f32 v7, v39, s8, -v117
	v_fmac_f32_e32 v111, 0xbf788fa5, v28
	v_add_f32_e32 v1, v8, v1
	v_fma_f32 v8, v32, s9, -v58
	v_fmac_f32_e32 v51, 0x3f116cb1, v28
	v_add_f32_e32 v20, v96, v20
	v_add_f32_e32 v21, v21, v0
	v_fma_f32 v96, v29, s8, -v100
	v_add_f32_e32 v22, v86, v22
	v_add_f32_e32 v23, v23, v0
	v_fma_f32 v86, v29, s10, -v90
	v_add_f32_e32 v42, v48, v42
	v_mul_f32_e32 v48, 0xbf3f9e67, v38
	v_add_f32_e32 v40, v41, v40
	v_mul_f32_e32 v41, 0xbf3f9e67, v35
	v_add_f32_e32 v5, v9, v5
	v_add_f32_e32 v7, v7, v6
	v_add_f32_e32 v6, v111, v0
	v_fmac_f32_e32 v112, 0x3f62ad3f, v29
	v_add_f32_e32 v1, v8, v1
	v_fma_f32 v8, v34, s11, -v61
	v_add_f32_e32 v0, v51, v0
	v_fmac_f32_e32 v54, 0xbeb58ec6, v29
	v_fma_f32 v116, v35, s9, -v115
	v_add_f32_e32 v21, v96, v21
	v_fma_f32 v96, v31, s7, -v101
	v_add_f32_e32 v23, v86, v23
	;; [unrolled: 2-line block ×3, first 2 shown]
	v_sub_f32_e32 v41, v41, v50
	v_add_f32_e32 v5, v11, v5
	v_add_f32_e32 v4, v10, v4
	;; [unrolled: 1-line block ×3, first 2 shown]
	v_fmac_f32_e32 v113, 0xbf3f9e67, v31
	v_add_f32_e32 v1, v8, v1
	v_fma_f32 v8, v36, s10, -v63
	v_add_f32_e32 v0, v54, v0
	v_fmac_f32_e32 v76, 0xbf788fa5, v31
	v_add_f32_e32 v116, v116, v19
	v_mov_b32_e32 v19, v117
	v_add_f32_e32 v20, v97, v20
	v_add_f32_e32 v21, v96, v21
	v_fma_f32 v96, v33, s11, -v102
	v_add_f32_e32 v22, v87, v22
	v_add_f32_e32 v23, v86, v23
	v_fma_f32 v86, v33, s8, -v92
	v_add_f32_e32 v42, v48, v42
	v_mul_f32_e32 v48, 0xbf788fa5, v39
	v_add_f32_e32 v40, v41, v40
	v_mul_f32_e32 v41, 0xbf788fa5, v37
	v_add_f32_e32 v5, v13, v5
	v_add_f32_e32 v4, v12, v4
	;; [unrolled: 1-line block ×3, first 2 shown]
	v_fmac_f32_e32 v114, 0x3f116cb1, v33
	v_add_f32_e32 v1, v8, v1
	v_fma_f32 v8, v38, s8, -v70
	v_add_f32_e32 v0, v76, v0
	v_fmac_f32_e32 v59, 0xbf3f9e67, v33
	v_fmac_f32_e32 v19, 0x3df6dbef, v39
	v_add_f32_e32 v20, v98, v20
	v_add_f32_e32 v21, v96, v21
	v_fma_f32 v96, v35, s6, -v103
	v_add_f32_e32 v22, v88, v22
	v_add_f32_e32 v23, v86, v23
	v_fma_f32 v86, v35, s11, -v93
	v_add_f32_e32 v48, v60, v48
	v_sub_f32_e32 v43, v41, v53
	v_add_f32_e32 v5, v15, v5
	v_add_f32_e32 v4, v14, v4
	;; [unrolled: 1-line block ×3, first 2 shown]
	v_fmac_f32_e32 v115, 0xbeb58ec6, v35
	v_add_f32_e32 v1, v8, v1
	v_fma_f32 v8, v39, s6, -v71
	v_add_f32_e32 v0, v59, v0
	v_fmac_f32_e32 v62, 0x3df6dbef, v35
	v_add_f32_e32 v19, v19, v18
	v_fma_f32 v18, v37, s8, -v118
	v_add_f32_e32 v96, v96, v21
	v_add_f32_e32 v21, v104, v20
	v_fma_f32 v20, v37, s9, -v105
	v_add_f32_e32 v86, v86, v23
	;; [unrolled: 3-line block ×3, first 2 shown]
	v_add_f32_e32 v40, v43, v40
	v_add_f32_e32 v5, v25, v5
	;; [unrolled: 1-line block ×4, first 2 shown]
	v_fmac_f32_e32 v118, 0x3df6dbef, v37
	v_add_f32_e32 v1, v8, v1
	v_add_f32_e32 v0, v62, v0
	v_fmac_f32_e32 v64, 0x3f62ad3f, v37
	v_add_lshl_u32 v8, v67, v69, 3
	v_add_f32_e32 v18, v18, v116
	v_add_f32_e32 v20, v20, v96
	;; [unrolled: 1-line block ×5, first 2 shown]
	ds_write2_b64 v8, v[4:5], v[40:41] offset1:1
	ds_write2_b64 v8, v[56:57], v[72:73] offset0:2 offset1:3
	ds_write2_b64 v8, v[22:23], v[20:21] offset0:4 offset1:5
	;; [unrolled: 1-line block ×5, first 2 shown]
	ds_write_b64 v8, v[45:46] offset:96
.LBB0_7:
	s_or_b64 exec, exec, s[4:5]
	s_load_dwordx4 s[4:7], s[0:1], 0x0
	v_add_u32_e32 v0, -13, v65
	v_cmp_gt_u16_e64 s[0:1], 13, v65
	v_cndmask_b32_e64 v36, v0, v65, s[0:1]
	v_mul_i32_i24_e32 v1, 24, v36
	v_mul_hi_i32_i24_e32 v0, 24, v36
	v_mov_b32_e32 v37, s3
	v_add_co_u32_e64 v4, s[0:1], s2, v1
	v_addc_co_u32_e64 v5, s[0:1], v37, v0, s[0:1]
	v_add_co_u32_e64 v38, s[0:1], 26, v65
	s_movk_i32 s8, 0x4f
	s_waitcnt lgkmcnt(0)
	; wave barrier
	s_waitcnt lgkmcnt(0)
	global_load_dwordx4 v[0:3], v[4:5], off
	global_load_dwordx2 v[47:48], v[4:5], off offset:16
	v_mul_lo_u16_sdwa v4, v38, s8 dst_sel:DWORD dst_unused:UNUSED_PAD src0_sel:BYTE_0 src1_sel:DWORD
	v_lshrrev_b16_e32 v39, 10, v4
	v_add_u16_e32 v8, 52, v65
	v_mul_lo_u16_e32 v4, 13, v39
	v_mul_lo_u16_sdwa v9, v8, s8 dst_sel:DWORD dst_unused:UNUSED_PAD src0_sel:BYTE_0 src1_sel:DWORD
	v_sub_u16_e32 v4, v38, v4
	v_lshrrev_b16_e32 v41, 10, v9
	v_and_b32_e32 v40, 0xff, v4
	v_mul_lo_u16_e32 v9, 13, v41
	v_mad_u64_u32 v[12:13], s[0:1], v40, 24, s[2:3]
	v_sub_u16_e32 v8, v8, v9
	v_and_b32_e32 v42, 0xff, v8
	v_mad_u64_u32 v[14:15], s[0:1], v42, 24, s[2:3]
	global_load_dwordx4 v[4:7], v[12:13], off
	global_load_dwordx2 v[51:52], v[12:13], off offset:16
	global_load_dwordx4 v[8:11], v[14:15], off
	global_load_dwordx2 v[49:50], v[14:15], off offset:16
	v_add_lshl_u32 v70, v67, v65, 3
	ds_read2_b64 v[12:15], v70 offset1:26
	ds_read2_b64 v[16:19], v70 offset0:52 offset1:78
	ds_read2_b64 v[20:23], v70 offset0:156 offset1:182
	;; [unrolled: 1-line block ×4, first 2 shown]
	v_add_u32_e32 v72, 0x800, v70
	ds_read2_b64 v[32:35], v72 offset0:4 offset1:30
	v_cmp_lt_u16_e64 s[0:1], 12, v65
	s_waitcnt lgkmcnt(0)
	; wave barrier
	s_waitcnt vmcnt(5) lgkmcnt(0)
	v_mul_f32_e32 v43, v19, v1
	v_mul_f32_e32 v53, v18, v1
	;; [unrolled: 1-line block ×3, first 2 shown]
	s_waitcnt vmcnt(4)
	v_mul_f32_e32 v56, v27, v48
	v_mul_f32_e32 v55, v20, v3
	v_fma_f32 v18, v18, v0, -v43
	v_fmac_f32_e32 v53, v19, v0
	v_fma_f32 v19, v20, v2, -v54
	v_fma_f32 v20, v26, v47, -v56
	v_mul_f32_e32 v57, v26, v48
	v_fmac_f32_e32 v55, v21, v2
	v_sub_f32_e32 v26, v12, v19
	v_sub_f32_e32 v21, v18, v20
	v_fmac_f32_e32 v57, v27, v47
	v_fma_f32 v19, v12, 2.0, -v26
	v_fma_f32 v12, v18, 2.0, -v21
	v_sub_f32_e32 v27, v13, v55
	v_sub_f32_e32 v20, v53, v57
	;; [unrolled: 1-line block ×3, first 2 shown]
	v_fma_f32 v43, v13, 2.0, -v27
	v_fma_f32 v13, v53, 2.0, -v20
	;; [unrolled: 1-line block ×3, first 2 shown]
	s_waitcnt vmcnt(3)
	v_mul_f32_e32 v19, v29, v5
	v_mul_f32_e32 v53, v28, v5
	;; [unrolled: 1-line block ×4, first 2 shown]
	s_waitcnt vmcnt(2)
	v_mul_f32_e32 v56, v33, v52
	v_mul_f32_e32 v57, v32, v52
	s_waitcnt vmcnt(0)
	v_mul_f32_e32 v62, v35, v50
	v_fma_f32 v28, v28, v4, -v19
	v_fmac_f32_e32 v53, v29, v4
	v_fma_f32 v29, v22, v6, -v54
	v_fmac_f32_e32 v55, v23, v6
	v_fma_f32 v32, v32, v51, -v56
	v_fmac_f32_e32 v57, v33, v51
	v_sub_f32_e32 v20, v26, v20
	v_add_f32_e32 v21, v27, v21
	v_mul_f32_e32 v58, v31, v9
	v_mul_f32_e32 v59, v30, v9
	;; [unrolled: 1-line block ×5, first 2 shown]
	v_fma_f32 v33, v34, v49, -v62
	v_fma_f32 v22, v26, 2.0, -v20
	v_fma_f32 v23, v27, 2.0, -v21
	v_sub_f32_e32 v29, v14, v29
	v_sub_f32_e32 v34, v15, v55
	;; [unrolled: 1-line block ×5, first 2 shown]
	v_fma_f32 v30, v30, v8, -v58
	v_fmac_f32_e32 v59, v31, v8
	v_fma_f32 v31, v24, v10, -v60
	v_fmac_f32_e32 v61, v25, v10
	v_fmac_f32_e32 v63, v35, v49
	v_fma_f32 v24, v14, 2.0, -v29
	v_fma_f32 v25, v15, 2.0, -v34
	;; [unrolled: 1-line block ×4, first 2 shown]
	v_sub_f32_e32 v26, v29, v26
	v_add_f32_e32 v27, v34, v27
	v_fma_f32 v19, v43, 2.0, -v13
	v_fma_f32 v28, v29, 2.0, -v26
	;; [unrolled: 1-line block ×3, first 2 shown]
	v_sub_f32_e32 v34, v16, v31
	v_sub_f32_e32 v35, v17, v61
	;; [unrolled: 1-line block ×4, first 2 shown]
	v_fma_f32 v31, v16, 2.0, -v34
	v_fma_f32 v32, v17, 2.0, -v35
	;; [unrolled: 1-line block ×4, first 2 shown]
	v_sub_f32_e32 v16, v31, v16
	v_sub_f32_e32 v17, v32, v17
	v_fma_f32 v30, v31, 2.0, -v16
	v_fma_f32 v31, v32, 2.0, -v17
	v_sub_f32_e32 v32, v34, v43
	v_cndmask_b32_e64 v43, 0, 52, s[0:1]
	v_add_u32_e32 v36, v36, v43
	v_add_lshl_u32 v73, v67, v36, 3
	ds_write2_b64 v73, v[18:19], v[22:23] offset1:13
	ds_write2_b64 v73, v[12:13], v[20:21] offset0:26 offset1:39
	v_mul_u32_u24_e32 v12, 52, v39
	v_add_u32_e32 v12, v12, v40
	v_add_lshl_u32 v74, v67, v12, 3
	v_mul_u32_u24_e32 v12, 52, v41
	v_sub_f32_e32 v14, v24, v14
	v_sub_f32_e32 v15, v25, v15
	v_add_f32_e32 v33, v35, v33
	v_add_u32_e32 v12, v12, v42
	v_fma_f32 v24, v24, 2.0, -v14
	v_fma_f32 v25, v25, 2.0, -v15
	;; [unrolled: 1-line block ×4, first 2 shown]
	v_add_lshl_u32 v75, v67, v12, 3
	v_lshlrev_b32_e32 v20, 4, v65
	ds_write2_b64 v74, v[24:25], v[28:29] offset1:13
	ds_write2_b64 v74, v[14:15], v[26:27] offset0:26 offset1:39
	ds_write2_b64 v75, v[30:31], v[34:35] offset1:13
	ds_write2_b64 v75, v[16:17], v[32:33] offset0:26 offset1:39
	s_waitcnt lgkmcnt(0)
	; wave barrier
	s_waitcnt lgkmcnt(0)
	global_load_dwordx4 v[12:15], v20, s[2:3] offset:312
	v_lshlrev_b32_e32 v16, 4, v38
	global_load_dwordx4 v[16:19], v16, s[2:3] offset:312
	v_add_co_u32_e64 v53, s[0:1], s2, v20
	v_addc_co_u32_e64 v54, s[0:1], 0, v37, s[0:1]
	ds_read2_b64 v[20:23], v70 offset1:26
	ds_read2_b64 v[24:27], v70 offset0:104 offset1:130
	ds_read2_b64 v[28:31], v70 offset0:208 offset1:234
	;; [unrolled: 1-line block ×5, first 2 shown]
	s_waitcnt lgkmcnt(0)
	; wave barrier
	s_waitcnt vmcnt(1) lgkmcnt(0)
	v_mul_f32_e32 v55, v25, v13
	v_mul_f32_e32 v56, v24, v13
	;; [unrolled: 1-line block ×3, first 2 shown]
	s_waitcnt vmcnt(0)
	v_mul_f32_e32 v59, v27, v17
	v_mul_f32_e32 v61, v31, v19
	v_fma_f32 v55, v24, v12, -v55
	v_mul_f32_e32 v24, v37, v13
	v_mul_f32_e32 v58, v28, v15
	v_fma_f32 v28, v28, v14, -v57
	v_fma_f32 v57, v26, v16, -v59
	v_fma_f32 v59, v30, v18, -v61
	v_fma_f32 v61, v36, v12, -v24
	v_mul_f32_e32 v24, v41, v15
	v_fma_f32 v64, v40, v14, -v24
	v_mul_f32_e32 v24, v39, v17
	v_fmac_f32_e32 v56, v25, v12
	v_fma_f32 v71, v38, v16, -v24
	v_mul_f32_e32 v24, v43, v19
	v_add_f32_e32 v25, v55, v28
	v_mul_f32_e32 v60, v26, v17
	v_fmac_f32_e32 v58, v29, v14
	v_fma_f32 v77, v42, v18, -v24
	v_add_f32_e32 v24, v20, v55
	v_fma_f32 v20, -0.5, v25, v20
	v_fmac_f32_e32 v60, v27, v16
	v_sub_f32_e32 v25, v56, v58
	v_mov_b32_e32 v26, v20
	v_add_f32_e32 v27, v56, v58
	v_fmac_f32_e32 v26, 0x3f5db3d7, v25
	v_fmac_f32_e32 v20, 0xbf5db3d7, v25
	v_add_f32_e32 v25, v21, v56
	v_fma_f32 v21, -0.5, v27, v21
	v_mul_f32_e32 v62, v30, v19
	v_add_f32_e32 v24, v24, v28
	v_sub_f32_e32 v28, v55, v28
	v_mov_b32_e32 v27, v21
	v_add_f32_e32 v29, v57, v59
	v_fmac_f32_e32 v62, v31, v18
	v_fmac_f32_e32 v27, 0xbf5db3d7, v28
	;; [unrolled: 1-line block ×3, first 2 shown]
	v_add_f32_e32 v28, v22, v57
	v_fma_f32 v22, -0.5, v29, v22
	v_sub_f32_e32 v29, v60, v62
	v_mov_b32_e32 v30, v22
	v_add_f32_e32 v31, v60, v62
	v_mul_f32_e32 v63, v36, v13
	v_fmac_f32_e32 v30, 0x3f5db3d7, v29
	v_fmac_f32_e32 v22, 0xbf5db3d7, v29
	v_add_f32_e32 v29, v23, v60
	v_fmac_f32_e32 v23, -0.5, v31
	v_fmac_f32_e32 v63, v37, v12
	v_mul_f32_e32 v40, v40, v15
	v_sub_f32_e32 v36, v57, v59
	v_mov_b32_e32 v31, v23
	v_add_f32_e32 v37, v61, v64
	v_fmac_f32_e32 v40, v41, v14
	v_mul_f32_e32 v76, v38, v17
	v_fmac_f32_e32 v31, 0xbf5db3d7, v36
	v_fmac_f32_e32 v23, 0x3f5db3d7, v36
	v_add_f32_e32 v36, v32, v61
	v_fma_f32 v32, -0.5, v37, v32
	v_fmac_f32_e32 v76, v39, v16
	v_sub_f32_e32 v37, v63, v40
	v_mov_b32_e32 v38, v32
	v_add_f32_e32 v39, v63, v40
	v_fmac_f32_e32 v38, 0x3f5db3d7, v37
	v_fmac_f32_e32 v32, 0xbf5db3d7, v37
	v_add_f32_e32 v37, v33, v63
	v_fma_f32 v33, -0.5, v39, v33
	v_mul_f32_e32 v78, v42, v19
	v_add_f32_e32 v37, v37, v40
	v_sub_f32_e32 v40, v61, v64
	v_mov_b32_e32 v39, v33
	v_add_f32_e32 v41, v71, v77
	v_fmac_f32_e32 v78, v43, v18
	v_fmac_f32_e32 v39, 0xbf5db3d7, v40
	;; [unrolled: 1-line block ×3, first 2 shown]
	v_add_f32_e32 v40, v34, v71
	v_fma_f32 v34, -0.5, v41, v34
	v_sub_f32_e32 v41, v76, v78
	v_mov_b32_e32 v42, v34
	v_add_f32_e32 v43, v76, v78
	v_fmac_f32_e32 v42, 0x3f5db3d7, v41
	v_fmac_f32_e32 v34, 0xbf5db3d7, v41
	v_add_f32_e32 v41, v35, v76
	v_fmac_f32_e32 v35, -0.5, v43
	v_add_f32_e32 v25, v25, v58
	v_add_f32_e32 v28, v28, v59
	;; [unrolled: 1-line block ×3, first 2 shown]
	v_sub_f32_e32 v55, v71, v77
	v_mov_b32_e32 v43, v35
	v_lshlrev_b32_e32 v71, 3, v65
	v_add_f32_e32 v36, v36, v64
	v_add_f32_e32 v40, v40, v77
	;; [unrolled: 1-line block ×3, first 2 shown]
	v_fmac_f32_e32 v43, 0xbf5db3d7, v55
	v_fmac_f32_e32 v35, 0x3f5db3d7, v55
	ds_write2_b64 v70, v[24:25], v[28:29] offset1:26
	ds_write2_b64 v70, v[26:27], v[30:31] offset0:52 offset1:78
	ds_write2_b64 v70, v[20:21], v[22:23] offset0:104 offset1:130
	;; [unrolled: 1-line block ×5, first 2 shown]
	v_sub_co_u32_e64 v20, s[0:1], v53, v71
	v_subbrev_co_u32_e64 v21, s[0:1], 0, v54, s[0:1]
	s_waitcnt lgkmcnt(0)
	; wave barrier
	s_waitcnt lgkmcnt(0)
	global_load_dwordx2 v[53:54], v[20:21], off offset:1144
	global_load_dwordx2 v[55:56], v[20:21], off offset:1352
	;; [unrolled: 1-line block ×6, first 2 shown]
	ds_read2_b64 v[26:29], v70 offset1:26
	ds_read2_b64 v[20:23], v70 offset0:156 offset1:182
	ds_read2_b64 v[34:37], v70 offset0:52 offset1:78
	ds_read2_b64 v[30:33], v70 offset0:208 offset1:234
	ds_read2_b64 v[76:79], v70 offset0:104 offset1:130
	ds_read2_b64 v[38:41], v72 offset0:4 offset1:30
	s_waitcnt vmcnt(5) lgkmcnt(4)
	v_mul_f32_e32 v24, v21, v54
	v_fma_f32 v24, v20, v53, -v24
	v_mul_f32_e32 v20, v20, v54
	v_fmac_f32_e32 v20, v21, v53
	s_waitcnt vmcnt(4)
	v_mul_f32_e32 v21, v23, v56
	v_fma_f32 v25, v22, v55, -v21
	s_waitcnt vmcnt(3) lgkmcnt(2)
	v_mul_f32_e32 v21, v31, v58
	v_fma_f32 v43, v30, v57, -v21
	s_waitcnt vmcnt(2)
	v_mul_f32_e32 v21, v33, v60
	v_fma_f32 v80, v32, v59, -v21
	s_waitcnt vmcnt(1) lgkmcnt(0)
	v_mul_f32_e32 v21, v39, v62
	v_mul_f32_e32 v42, v22, v56
	v_mul_f32_e32 v72, v30, v58
	v_fma_f32 v81, v38, v61, -v21
	s_waitcnt vmcnt(0)
	v_mul_f32_e32 v21, v41, v64
	v_fmac_f32_e32 v42, v23, v55
	v_fmac_f32_e32 v72, v31, v57
	v_mul_f32_e32 v32, v32, v60
	v_mul_f32_e32 v82, v38, v62
	v_fma_f32 v83, v40, v63, -v21
	v_mul_f32_e32 v40, v40, v64
	v_sub_f32_e32 v22, v26, v24
	v_sub_f32_e32 v23, v27, v20
	v_fmac_f32_e32 v32, v33, v59
	v_fmac_f32_e32 v82, v39, v61
	;; [unrolled: 1-line block ×3, first 2 shown]
	v_fma_f32 v20, v26, 2.0, -v22
	v_fma_f32 v21, v27, 2.0, -v23
	v_sub_f32_e32 v26, v28, v25
	v_sub_f32_e32 v27, v29, v42
	;; [unrolled: 1-line block ×4, first 2 shown]
	v_fma_f32 v24, v28, 2.0, -v26
	v_fma_f32 v25, v29, 2.0, -v27
	;; [unrolled: 1-line block ×4, first 2 shown]
	v_sub_f32_e32 v34, v36, v80
	v_sub_f32_e32 v35, v37, v32
	;; [unrolled: 1-line block ×6, first 2 shown]
	v_fma_f32 v32, v36, 2.0, -v34
	v_fma_f32 v33, v37, 2.0, -v35
	;; [unrolled: 1-line block ×6, first 2 shown]
	v_lshl_add_u32 v72, v65, 3, v68
	v_add_u32_e32 v76, v71, v68
	ds_write2_b64 v72, v[20:21], v[24:25] offset1:26
	ds_write2_b64 v72, v[22:23], v[26:27] offset0:156 offset1:182
	ds_write2_b64 v72, v[28:29], v[32:33] offset0:52 offset1:78
	;; [unrolled: 1-line block ×3, first 2 shown]
	ds_write_b64 v72, v[36:37] offset:832
	ds_write_b64 v76, v[38:39] offset:2080
	;; [unrolled: 1-line block ×4, first 2 shown]
	s_waitcnt lgkmcnt(0)
	; wave barrier
	s_waitcnt lgkmcnt(0)
	s_and_saveexec_b64 s[0:1], vcc
	s_cbranch_execz .LBB0_9
; %bb.8:
	global_load_dwordx2 v[81:82], v66, s[12:13] offset:2496
	ds_read2_b64 v[77:80], v72 offset1:24
	s_add_u32 s2, s12, 0x9c0
	s_addc_u32 s3, s13, 0
	v_add_u32_e32 v85, 0x400, v72
	s_waitcnt vmcnt(0) lgkmcnt(0)
	v_mul_f32_e32 v83, v78, v82
	v_mul_f32_e32 v84, v77, v82
	v_fma_f32 v83, v77, v81, -v83
	v_fmac_f32_e32 v84, v78, v81
	global_load_dwordx2 v[77:78], v66, s[2:3] offset:192
	s_waitcnt vmcnt(0)
	v_mul_f32_e32 v81, v80, v78
	v_mul_f32_e32 v82, v79, v78
	v_fma_f32 v81, v79, v77, -v81
	v_fmac_f32_e32 v82, v80, v77
	ds_write2_b64 v72, v[83:84], v[81:82] offset1:24
	global_load_dwordx2 v[81:82], v66, s[2:3] offset:384
	ds_read2_b64 v[77:80], v72 offset0:48 offset1:72
	s_waitcnt vmcnt(0) lgkmcnt(0)
	v_mul_f32_e32 v83, v78, v82
	v_mul_f32_e32 v84, v77, v82
	v_fma_f32 v83, v77, v81, -v83
	v_fmac_f32_e32 v84, v78, v81
	global_load_dwordx2 v[77:78], v66, s[2:3] offset:576
	s_waitcnt vmcnt(0)
	v_mul_f32_e32 v81, v80, v78
	v_mul_f32_e32 v82, v79, v78
	v_fma_f32 v81, v79, v77, -v81
	v_fmac_f32_e32 v82, v80, v77
	ds_write2_b64 v72, v[83:84], v[81:82] offset0:48 offset1:72
	global_load_dwordx2 v[81:82], v66, s[2:3] offset:768
	ds_read2_b64 v[77:80], v72 offset0:96 offset1:120
	s_waitcnt vmcnt(0) lgkmcnt(0)
	v_mul_f32_e32 v83, v78, v82
	v_mul_f32_e32 v84, v77, v82
	v_fma_f32 v83, v77, v81, -v83
	v_fmac_f32_e32 v84, v78, v81
	global_load_dwordx2 v[77:78], v66, s[2:3] offset:960
	s_waitcnt vmcnt(0)
	v_mul_f32_e32 v81, v80, v78
	v_mul_f32_e32 v82, v79, v78
	v_fma_f32 v81, v79, v77, -v81
	v_fmac_f32_e32 v82, v80, v77
	ds_write2_b64 v72, v[83:84], v[81:82] offset0:96 offset1:120
	;; [unrolled: 14-line block ×4, first 2 shown]
	global_load_dwordx2 v[81:82], v66, s[2:3] offset:1920
	ds_read2_b64 v[77:80], v85 offset0:112 offset1:136
	s_waitcnt vmcnt(0) lgkmcnt(0)
	v_mul_f32_e32 v83, v78, v82
	v_mul_f32_e32 v84, v77, v82
	v_fma_f32 v83, v77, v81, -v83
	v_fmac_f32_e32 v84, v78, v81
	global_load_dwordx2 v[77:78], v66, s[2:3] offset:2112
	s_waitcnt vmcnt(0)
	v_mul_f32_e32 v81, v80, v78
	v_mul_f32_e32 v82, v79, v78
	v_fma_f32 v81, v79, v77, -v81
	v_fmac_f32_e32 v82, v80, v77
	global_load_dwordx2 v[79:80], v66, s[2:3] offset:2304
	ds_read_b64 v[77:78], v72 offset:2304
	ds_write2_b64 v85, v[83:84], v[81:82] offset0:112 offset1:136
	s_waitcnt vmcnt(0) lgkmcnt(1)
	v_mul_f32_e32 v81, v78, v80
	v_mul_f32_e32 v82, v77, v80
	v_fma_f32 v81, v77, v79, -v81
	v_fmac_f32_e32 v82, v78, v79
	ds_write_b64 v72, v[81:82] offset:2304
.LBB0_9:
	s_or_b64 exec, exec, s[0:1]
	s_waitcnt lgkmcnt(0)
	; wave barrier
	s_waitcnt lgkmcnt(0)
	s_and_saveexec_b64 s[0:1], vcc
	s_cbranch_execz .LBB0_11
; %bb.10:
	ds_read2_b64 v[20:23], v72 offset1:24
	ds_read2_b64 v[24:27], v72 offset0:48 offset1:72
	ds_read2_b64 v[28:31], v72 offset0:96 offset1:120
	;; [unrolled: 1-line block ×4, first 2 shown]
	v_add_u32_e32 v40, 0x400, v72
	ds_read2_b64 v[40:43], v40 offset0:112 offset1:136
	ds_read_b64 v[45:46], v72 offset:2304
.LBB0_11:
	s_or_b64 exec, exec, s[0:1]
	v_add_u32_e32 v77, 0x340, v76
	v_add_u32_e32 v76, 0x410, v76
	s_waitcnt lgkmcnt(0)
	; wave barrier
	s_waitcnt lgkmcnt(0)
	s_and_saveexec_b64 s[0:1], vcc
	s_cbranch_execz .LBB0_13
; %bb.12:
	v_sub_f32_e32 v96, v22, v45
	v_mul_f32_e32 v90, 0xbf7e222b, v96
	v_sub_f32_e32 v97, v24, v42
	v_add_f32_e32 v94, v46, v23
	v_mov_b32_e32 v78, v90
	v_mul_f32_e32 v91, 0xbe750f2a, v97
	v_fmac_f32_e32 v78, 0x3df6dbef, v94
	v_add_f32_e32 v95, v43, v25
	v_mov_b32_e32 v79, v91
	v_sub_f32_e32 v98, v26, v40
	v_add_f32_e32 v78, v21, v78
	v_fmac_f32_e32 v79, 0xbf788fa5, v95
	v_mul_f32_e32 v92, 0x3f6f5d39, v98
	v_add_f32_e32 v78, v79, v78
	v_add_f32_e32 v99, v41, v27
	v_mov_b32_e32 v79, v92
	v_sub_f32_e32 v100, v28, v38
	v_fmac_f32_e32 v79, 0xbeb58ec6, v99
	v_mul_f32_e32 v93, 0x3eedf032, v100
	v_add_f32_e32 v78, v79, v78
	v_add_f32_e32 v101, v39, v29
	v_mov_b32_e32 v79, v93
	v_sub_f32_e32 v102, v30, v36
	;; [unrolled: 6-line block ×4, first 2 shown]
	s_mov_b32 s2, 0x3df6dbef
	v_fmac_f32_e32 v79, 0xbf3f9e67, v107
	v_add_f32_e32 v108, v45, v22
	v_mul_f32_e32 v110, 0xbf7e222b, v109
	v_sub_f32_e32 v112, v25, v43
	s_mov_b32 s3, 0xbf788fa5
	v_add_f32_e32 v79, v79, v78
	v_fma_f32 v78, v108, s2, -v110
	v_add_f32_e32 v111, v42, v24
	v_mul_f32_e32 v113, 0xbe750f2a, v112
	v_sub_f32_e32 v115, v27, v41
	s_mov_b32 s8, 0xbeb58ec6
	v_add_f32_e32 v78, v20, v78
	v_fma_f32 v80, v111, s3, -v113
	;; [unrolled: 6-line block ×5, first 2 shown]
	v_add_f32_e32 v123, v34, v32
	v_mul_f32_e32 v125, 0xbf29c268, v124
	v_add_f32_e32 v78, v80, v78
	v_fma_f32 v80, v123, s11, -v125
	v_mul_f32_e32 v88, 0xbf6f5d39, v96
	v_add_f32_e32 v78, v80, v78
	v_mov_b32_e32 v80, v88
	v_mul_f32_e32 v89, 0x3f29c268, v97
	v_fmac_f32_e32 v80, 0xbeb58ec6, v94
	v_mov_b32_e32 v81, v89
	v_add_f32_e32 v80, v21, v80
	v_fmac_f32_e32 v81, 0xbf3f9e67, v95
	v_mul_f32_e32 v126, 0x3eedf032, v98
	v_add_f32_e32 v80, v81, v80
	v_mov_b32_e32 v81, v126
	v_fmac_f32_e32 v81, 0x3f62ad3f, v99
	v_mul_f32_e32 v127, 0xbf7e222b, v100
	v_add_f32_e32 v80, v81, v80
	v_mov_b32_e32 v81, v127
	;; [unrolled: 4-line block ×4, first 2 shown]
	v_fmac_f32_e32 v81, 0x3f116cb1, v107
	v_mul_f32_e32 v130, 0xbf6f5d39, v109
	v_add_f32_e32 v81, v81, v80
	v_fma_f32 v80, v108, s8, -v130
	v_mul_f32_e32 v131, 0x3f29c268, v112
	v_add_f32_e32 v80, v20, v80
	v_fma_f32 v82, v111, s11, -v131
	;; [unrolled: 3-line block ×6, first 2 shown]
	v_mul_f32_e32 v86, 0xbf29c268, v96
	v_add_f32_e32 v80, v82, v80
	v_mov_b32_e32 v82, v86
	v_mul_f32_e32 v87, 0x3f7e222b, v97
	v_fmac_f32_e32 v82, 0xbf3f9e67, v94
	v_mov_b32_e32 v83, v87
	v_add_f32_e32 v82, v21, v82
	v_fmac_f32_e32 v83, 0x3df6dbef, v95
	v_mul_f32_e32 v136, 0xbf52af12, v98
	v_add_f32_e32 v82, v83, v82
	v_mov_b32_e32 v83, v136
	v_fmac_f32_e32 v83, 0x3f116cb1, v99
	v_mul_f32_e32 v137, 0x3e750f2a, v100
	v_add_f32_e32 v82, v83, v82
	v_mov_b32_e32 v83, v137
	v_fma_f32 v90, v94, s2, -v90
	v_fmac_f32_e32 v83, 0xbf788fa5, v101
	v_mul_f32_e32 v138, 0x3eedf032, v102
	v_add_f32_e32 v90, v21, v90
	v_fma_f32 v91, v95, s3, -v91
	v_add_f32_e32 v82, v83, v82
	v_mov_b32_e32 v83, v138
	v_add_f32_e32 v90, v91, v90
	v_fma_f32 v91, v99, s8, -v92
	v_fmac_f32_e32 v83, 0x3f62ad3f, v104
	v_mul_f32_e32 v139, 0xbf6f5d39, v105
	v_add_f32_e32 v90, v91, v90
	v_fma_f32 v91, v101, s9, -v93
	v_add_f32_e32 v82, v83, v82
	v_mov_b32_e32 v83, v139
	v_add_f32_e32 v90, v91, v90
	v_fma_f32 v91, v104, s10, -v103
	v_mul_f32_e32 v103, 0x3f116cb1, v94
	v_fmac_f32_e32 v83, 0xbeb58ec6, v107
	v_mul_f32_e32 v140, 0xbf29c268, v109
	v_add_f32_e32 v90, v91, v90
	v_fma_f32 v91, v107, s11, -v106
	v_mov_b32_e32 v92, v103
	v_mul_f32_e32 v106, 0xbeb58ec6, v95
	v_add_f32_e32 v83, v83, v82
	v_fma_f32 v82, v108, s11, -v140
	v_mul_f32_e32 v141, 0x3f7e222b, v112
	v_fmac_f32_e32 v110, 0x3df6dbef, v108
	v_fmac_f32_e32 v92, 0x3f52af12, v96
	v_mov_b32_e32 v93, v106
	v_add_f32_e32 v82, v20, v82
	v_fma_f32 v84, v111, s2, -v141
	v_mul_f32_e32 v142, 0xbf52af12, v115
	v_add_f32_e32 v91, v91, v90
	v_add_f32_e32 v90, v20, v110
	;; [unrolled: 1-line block ×3, first 2 shown]
	v_fmac_f32_e32 v93, 0x3f6f5d39, v97
	v_mul_f32_e32 v110, 0xbf788fa5, v99
	v_add_f32_e32 v82, v84, v82
	v_fma_f32 v84, v114, s10, -v142
	v_mul_f32_e32 v143, 0x3e750f2a, v118
	v_fmac_f32_e32 v113, 0xbf788fa5, v111
	v_add_f32_e32 v92, v93, v92
	v_mov_b32_e32 v93, v110
	v_add_f32_e32 v82, v84, v82
	v_fma_f32 v84, v117, s3, -v143
	v_mul_f32_e32 v144, 0x3eedf032, v121
	v_add_f32_e32 v90, v113, v90
	v_fmac_f32_e32 v93, 0x3e750f2a, v98
	v_mul_f32_e32 v113, 0xbf3f9e67, v101
	v_add_f32_e32 v82, v84, v82
	v_fma_f32 v84, v120, s9, -v144
	v_mul_f32_e32 v145, 0xbf6f5d39, v124
	v_fmac_f32_e32 v116, 0xbeb58ec6, v114
	v_add_f32_e32 v92, v93, v92
	v_mov_b32_e32 v93, v113
	v_add_f32_e32 v82, v84, v82
	v_fma_f32 v84, v123, s8, -v145
	v_mul_f32_e32 v146, 0xbf788fa5, v94
	v_add_f32_e32 v90, v116, v90
	v_fmac_f32_e32 v93, 0xbf29c268, v100
	v_mul_f32_e32 v116, 0x3df6dbef, v104
	v_add_f32_e32 v82, v84, v82
	v_mov_b32_e32 v84, v146
	v_mul_f32_e32 v147, 0x3f62ad3f, v95
	v_fmac_f32_e32 v119, 0x3f62ad3f, v117
	v_add_f32_e32 v92, v93, v92
	v_mov_b32_e32 v93, v116
	v_fmac_f32_e32 v84, 0x3e750f2a, v96
	v_mov_b32_e32 v85, v147
	v_add_f32_e32 v90, v119, v90
	v_fmac_f32_e32 v93, 0xbf7e222b, v102
	v_mul_f32_e32 v119, 0x3f62ad3f, v107
	v_add_f32_e32 v84, v21, v84
	v_fmac_f32_e32 v85, 0xbeedf032, v97
	v_mul_f32_e32 v148, 0xbf3f9e67, v99
	v_fmac_f32_e32 v122, 0x3f116cb1, v120
	v_add_f32_e32 v92, v93, v92
	v_mov_b32_e32 v93, v119
	v_add_f32_e32 v84, v85, v84
	v_mov_b32_e32 v85, v148
	v_fma_f32 v88, v94, s8, -v88
	v_add_f32_e32 v90, v122, v90
	v_fmac_f32_e32 v125, 0xbf3f9e67, v123
	v_fmac_f32_e32 v93, 0xbeedf032, v105
	v_mul_f32_e32 v122, 0xbf52af12, v109
	v_fmac_f32_e32 v85, 0x3f29c268, v98
	v_mul_f32_e32 v149, 0x3f116cb1, v101
	v_add_f32_e32 v88, v21, v88
	v_fma_f32 v89, v95, s11, -v89
	v_add_f32_e32 v90, v125, v90
	v_add_f32_e32 v93, v93, v92
	v_mov_b32_e32 v92, v122
	v_mul_f32_e32 v125, 0xbf6f5d39, v112
	v_add_f32_e32 v84, v85, v84
	v_mov_b32_e32 v85, v149
	v_add_f32_e32 v88, v89, v88
	v_fma_f32 v89, v99, s9, -v126
	v_fmac_f32_e32 v92, 0x3f116cb1, v108
	v_mov_b32_e32 v126, v125
	v_fmac_f32_e32 v85, 0xbf52af12, v100
	v_mul_f32_e32 v150, 0xbeb58ec6, v104
	v_add_f32_e32 v92, v20, v92
	v_fmac_f32_e32 v126, 0xbeb58ec6, v111
	v_add_f32_e32 v84, v85, v84
	v_mov_b32_e32 v85, v150
	v_add_f32_e32 v92, v126, v92
	v_mul_f32_e32 v126, 0xbe750f2a, v115
	v_fmac_f32_e32 v85, 0x3f6f5d39, v102
	v_mul_f32_e32 v151, 0x3df6dbef, v107
	v_add_f32_e32 v88, v89, v88
	v_fma_f32 v89, v101, s2, -v127
	v_mov_b32_e32 v127, v126
	v_add_f32_e32 v84, v85, v84
	v_mov_b32_e32 v85, v151
	v_fmac_f32_e32 v127, 0xbf788fa5, v114
	v_fmac_f32_e32 v85, 0xbf7e222b, v105
	v_mul_f32_e32 v152, 0xbe750f2a, v109
	v_add_f32_e32 v92, v127, v92
	v_mul_f32_e32 v127, 0x3f29c268, v118
	v_add_f32_e32 v85, v85, v84
	v_mov_b32_e32 v84, v152
	v_mul_f32_e32 v153, 0x3eedf032, v112
	v_add_f32_e32 v88, v89, v88
	v_fma_f32 v89, v104, s3, -v128
	v_mov_b32_e32 v128, v127
	v_fmac_f32_e32 v84, 0xbf788fa5, v108
	v_mov_b32_e32 v154, v153
	v_fmac_f32_e32 v128, 0xbf3f9e67, v117
	v_add_f32_e32 v84, v20, v84
	v_fmac_f32_e32 v154, 0x3f62ad3f, v111
	v_add_f32_e32 v92, v128, v92
	v_mul_f32_e32 v128, 0x3f7e222b, v121
	v_add_f32_e32 v22, v22, v20
	v_fmac_f32_e32 v146, 0xbe750f2a, v96
	v_add_f32_e32 v84, v154, v84
	v_mul_f32_e32 v154, 0xbf29c268, v115
	v_add_f32_e32 v88, v89, v88
	v_fma_f32 v89, v107, s10, -v129
	v_mov_b32_e32 v129, v128
	v_add_f32_e32 v22, v24, v22
	v_add_f32_e32 v24, v21, v146
	v_fmac_f32_e32 v147, 0x3eedf032, v97
	v_mov_b32_e32 v155, v154
	v_fmac_f32_e32 v129, 0x3df6dbef, v120
	v_add_f32_e32 v24, v147, v24
	v_fmac_f32_e32 v148, 0xbf29c268, v98
	v_fmac_f32_e32 v155, 0xbf3f9e67, v114
	;; [unrolled: 1-line block ×3, first 2 shown]
	v_add_f32_e32 v92, v129, v92
	v_mul_f32_e32 v129, 0x3eedf032, v124
	v_add_f32_e32 v24, v148, v24
	v_fmac_f32_e32 v149, 0x3f52af12, v100
	v_add_f32_e32 v84, v155, v84
	v_mul_f32_e32 v155, 0x3f52af12, v118
	v_add_f32_e32 v89, v89, v88
	v_add_f32_e32 v88, v20, v130
	v_mov_b32_e32 v130, v129
	v_add_f32_e32 v24, v149, v24
	v_fmac_f32_e32 v150, 0xbf6f5d39, v102
	v_mov_b32_e32 v156, v155
	v_fmac_f32_e32 v130, 0x3f62ad3f, v123
	v_add_f32_e32 v23, v23, v21
	v_add_f32_e32 v24, v150, v24
	v_fmac_f32_e32 v151, 0x3f7e222b, v105
	v_fmac_f32_e32 v156, 0x3f116cb1, v117
	;; [unrolled: 1-line block ×3, first 2 shown]
	v_add_f32_e32 v92, v130, v92
	v_mul_f32_e32 v130, 0x3f62ad3f, v94
	v_add_f32_e32 v23, v25, v23
	v_add_f32_e32 v25, v151, v24
	v_fma_f32 v24, v108, s3, -v152
	v_add_f32_e32 v84, v156, v84
	v_mul_f32_e32 v156, 0xbf6f5d39, v121
	v_fma_f32 v86, v94, s11, -v86
	v_add_f32_e32 v88, v131, v88
	v_mov_b32_e32 v94, v130
	v_mul_f32_e32 v131, 0x3f116cb1, v95
	v_add_f32_e32 v22, v26, v22
	v_add_f32_e32 v24, v20, v24
	v_fma_f32 v26, v111, s9, -v153
	v_mov_b32_e32 v157, v156
	v_add_f32_e32 v86, v21, v86
	v_fma_f32 v87, v95, s2, -v87
	v_fmac_f32_e32 v94, 0x3eedf032, v96
	v_mov_b32_e32 v95, v131
	v_add_f32_e32 v24, v26, v24
	v_fma_f32 v26, v114, s11, -v154
	v_fmac_f32_e32 v157, 0xbeb58ec6, v120
	v_add_f32_e32 v86, v87, v86
	v_fma_f32 v87, v99, s10, -v136
	v_add_f32_e32 v94, v21, v94
	v_fmac_f32_e32 v95, 0x3f52af12, v97
	v_mul_f32_e32 v99, 0x3df6dbef, v99
	v_add_f32_e32 v24, v26, v24
	v_fma_f32 v26, v117, s10, -v155
	v_add_f32_e32 v84, v157, v84
	v_mul_f32_e32 v157, 0x3f7e222b, v124
	v_add_f32_e32 v94, v95, v94
	v_mov_b32_e32 v95, v99
	v_add_f32_e32 v24, v26, v24
	v_fma_f32 v26, v120, s8, -v156
	v_add_f32_e32 v86, v87, v86
	v_fma_f32 v87, v101, s3, -v137
	v_fmac_f32_e32 v95, 0x3f7e222b, v98
	v_mul_f32_e32 v101, 0xbeb58ec6, v101
	v_add_f32_e32 v24, v26, v24
	v_fma_f32 v26, v123, s2, -v157
	v_fmac_f32_e32 v103, 0xbf52af12, v96
	v_add_f32_e32 v94, v95, v94
	v_mov_b32_e32 v95, v101
	v_add_f32_e32 v24, v26, v24
	v_add_f32_e32 v26, v21, v103
	v_fmac_f32_e32 v106, 0xbf6f5d39, v97
	v_add_f32_e32 v86, v87, v86
	v_fma_f32 v87, v104, s9, -v138
	v_fmac_f32_e32 v95, 0x3f6f5d39, v100
	v_mul_f32_e32 v104, 0xbf3f9e67, v104
	v_add_f32_e32 v26, v106, v26
	v_fmac_f32_e32 v110, 0xbe750f2a, v98
	v_add_f32_e32 v94, v95, v94
	v_mov_b32_e32 v95, v104
	v_add_f32_e32 v26, v110, v26
	v_fmac_f32_e32 v113, 0x3f29c268, v100
	v_add_f32_e32 v86, v87, v86
	v_fma_f32 v87, v107, s8, -v139
	v_fmac_f32_e32 v95, 0x3f29c268, v102
	v_mul_f32_e32 v107, 0xbf788fa5, v107
	v_add_f32_e32 v26, v113, v26
	v_fmac_f32_e32 v116, 0x3f7e222b, v102
	v_add_f32_e32 v94, v95, v94
	v_mov_b32_e32 v95, v107
	v_add_f32_e32 v26, v116, v26
	v_fmac_f32_e32 v119, 0x3eedf032, v105
	v_fmac_f32_e32 v95, 0x3e750f2a, v105
	v_mul_f32_e32 v109, 0xbeedf032, v109
	v_add_f32_e32 v23, v27, v23
	v_add_f32_e32 v27, v119, v26
	v_fma_f32 v26, v108, s10, -v122
	v_fmac_f32_e32 v132, 0x3f62ad3f, v114
	v_add_f32_e32 v95, v95, v94
	v_mov_b32_e32 v94, v109
	v_mul_f32_e32 v112, 0xbf52af12, v112
	v_add_f32_e32 v22, v28, v22
	v_add_f32_e32 v26, v20, v26
	v_fma_f32 v28, v111, s8, -v125
	v_add_f32_e32 v88, v132, v88
	v_fmac_f32_e32 v94, 0x3f62ad3f, v108
	v_mov_b32_e32 v132, v112
	v_add_f32_e32 v26, v28, v26
	v_fma_f32 v28, v114, s3, -v126
	v_add_f32_e32 v94, v20, v94
	v_fmac_f32_e32 v132, 0x3f116cb1, v111
	v_mul_f32_e32 v115, 0xbf7e222b, v115
	v_add_f32_e32 v26, v28, v26
	v_fma_f32 v28, v117, s11, -v127
	v_add_f32_e32 v94, v132, v94
	v_mov_b32_e32 v132, v115
	v_add_f32_e32 v23, v29, v23
	v_add_f32_e32 v26, v28, v26
	v_fma_f32 v28, v120, s2, -v128
	v_fmac_f32_e32 v132, 0x3df6dbef, v114
	v_mul_f32_e32 v118, 0xbf6f5d39, v118
	v_add_f32_e32 v23, v31, v23
	v_add_f32_e32 v22, v30, v22
	v_add_f32_e32 v26, v28, v26
	v_fma_f32 v28, v123, s9, -v129
	v_fmac_f32_e32 v140, 0xbf3f9e67, v108
	v_add_f32_e32 v94, v132, v94
	v_mov_b32_e32 v132, v118
	v_add_f32_e32 v23, v33, v23
	v_add_f32_e32 v22, v32, v22
	v_add_f32_e32 v26, v28, v26
	v_fma_f32 v28, v108, s9, -v109
	v_add_f32_e32 v87, v87, v86
	v_add_f32_e32 v86, v20, v140
	v_fmac_f32_e32 v132, 0xbeb58ec6, v117
	v_mul_f32_e32 v121, 0xbf29c268, v121
	v_add_f32_e32 v23, v35, v23
	v_add_f32_e32 v22, v34, v22
	v_fmac_f32_e32 v130, 0xbeedf032, v96
	v_add_f32_e32 v20, v20, v28
	v_fma_f32 v28, v111, s10, -v112
	v_fmac_f32_e32 v141, 0x3df6dbef, v111
	v_add_f32_e32 v94, v132, v94
	v_mov_b32_e32 v132, v121
	v_add_f32_e32 v23, v37, v23
	v_add_f32_e32 v22, v36, v22
	;; [unrolled: 1-line block ×3, first 2 shown]
	v_fmac_f32_e32 v131, 0xbf52af12, v97
	v_add_f32_e32 v20, v28, v20
	v_fma_f32 v28, v114, s2, -v115
	v_add_f32_e32 v86, v141, v86
	v_fmac_f32_e32 v142, 0x3f116cb1, v114
	v_fmac_f32_e32 v132, 0xbf3f9e67, v120
	v_mul_f32_e32 v124, 0xbe750f2a, v124
	v_add_f32_e32 v23, v39, v23
	v_add_f32_e32 v22, v38, v22
	;; [unrolled: 1-line block ×3, first 2 shown]
	v_fmac_f32_e32 v99, 0xbf7e222b, v98
	v_add_f32_e32 v20, v28, v20
	v_fma_f32 v28, v117, s8, -v118
	v_add_f32_e32 v86, v142, v86
	v_fmac_f32_e32 v143, 0xbf788fa5, v117
	v_fmac_f32_e32 v133, 0x3df6dbef, v117
	v_add_f32_e32 v94, v132, v94
	v_mov_b32_e32 v132, v124
	v_add_f32_e32 v23, v41, v23
	v_add_f32_e32 v22, v40, v22
	;; [unrolled: 1-line block ×3, first 2 shown]
	v_fmac_f32_e32 v101, 0xbf6f5d39, v100
	v_add_f32_e32 v20, v28, v20
	v_fma_f32 v28, v120, s11, -v121
	v_mov_b32_e32 v158, v157
	v_add_f32_e32 v86, v143, v86
	v_fmac_f32_e32 v144, 0x3f62ad3f, v120
	v_add_f32_e32 v88, v133, v88
	v_fmac_f32_e32 v134, 0xbf788fa5, v120
	v_fmac_f32_e32 v132, 0xbf788fa5, v123
	v_add_f32_e32 v23, v43, v23
	v_add_f32_e32 v22, v42, v22
	;; [unrolled: 1-line block ×3, first 2 shown]
	v_fmac_f32_e32 v104, 0xbf29c268, v102
	v_add_f32_e32 v20, v28, v20
	v_fma_f32 v28, v123, s3, -v124
	v_fmac_f32_e32 v158, 0x3df6dbef, v123
	v_add_f32_e32 v86, v144, v86
	v_fmac_f32_e32 v145, 0xbeb58ec6, v123
	v_add_f32_e32 v88, v134, v88
	v_fmac_f32_e32 v135, 0x3f116cb1, v123
	v_add_f32_e32 v94, v132, v94
	v_add_f32_e32 v23, v46, v23
	v_add_f32_e32 v22, v45, v22
	v_add_f32_e32 v21, v104, v21
	v_fmac_f32_e32 v107, 0xbe750f2a, v105
	v_add_f32_e32 v20, v28, v20
	v_lshl_add_u32 v28, v69, 3, v68
	v_add_f32_e32 v84, v158, v84
	v_add_f32_e32 v86, v145, v86
	v_add_f32_e32 v88, v135, v88
	v_add_f32_e32 v21, v107, v21
	ds_write2_b64 v28, v[22:23], v[94:95] offset1:1
	ds_write2_b64 v28, v[92:93], v[90:91] offset0:2 offset1:3
	ds_write2_b64 v28, v[88:89], v[86:87] offset0:4 offset1:5
	;; [unrolled: 1-line block ×5, first 2 shown]
	ds_write_b64 v28, v[20:21] offset:96
.LBB0_13:
	s_or_b64 exec, exec, s[0:1]
	s_waitcnt lgkmcnt(0)
	; wave barrier
	s_waitcnt lgkmcnt(0)
	ds_read2_b64 v[20:23], v70 offset1:26
	ds_read2_b64 v[24:27], v70 offset0:52 offset1:78
	ds_read2_b64 v[28:31], v70 offset0:156 offset1:182
	;; [unrolled: 1-line block ×4, first 2 shown]
	v_add_u32_e32 v45, 0x800, v70
	ds_read2_b64 v[40:43], v45 offset0:4 offset1:30
	s_waitcnt lgkmcnt(4)
	v_mul_f32_e32 v46, v1, v27
	v_mul_f32_e32 v1, v1, v26
	v_fmac_f32_e32 v46, v0, v26
	v_fma_f32 v0, v0, v27, -v1
	s_waitcnt lgkmcnt(3)
	v_mul_f32_e32 v1, v3, v29
	v_mul_f32_e32 v3, v3, v28
	s_waitcnt lgkmcnt(1)
	v_mul_f32_e32 v27, v5, v37
	v_mul_f32_e32 v5, v5, v36
	v_fmac_f32_e32 v1, v2, v28
	v_fma_f32 v2, v2, v29, -v3
	v_fmac_f32_e32 v27, v4, v36
	v_fma_f32 v28, v4, v37, -v5
	v_mul_f32_e32 v29, v7, v31
	v_mul_f32_e32 v4, v7, v30
	;; [unrolled: 1-line block ×3, first 2 shown]
	v_fmac_f32_e32 v29, v6, v30
	v_fma_f32 v30, v6, v31, -v4
	s_waitcnt lgkmcnt(0)
	v_mul_f32_e32 v4, v52, v40
	v_fmac_f32_e32 v3, v47, v34
	v_mul_f32_e32 v26, v48, v34
	v_fma_f32 v34, v51, v41, -v4
	v_mul_f32_e32 v4, v9, v38
	v_fma_f32 v26, v47, v35, -v26
	;; [unrolled: 2-line block ×3, first 2 shown]
	v_mul_f32_e32 v37, v11, v33
	v_mul_f32_e32 v4, v11, v32
	;; [unrolled: 1-line block ×3, first 2 shown]
	v_fmac_f32_e32 v35, v8, v38
	v_fmac_f32_e32 v37, v10, v32
	v_fma_f32 v32, v10, v33, -v4
	v_mul_f32_e32 v4, v50, v42
	v_sub_f32_e32 v6, v20, v1
	v_sub_f32_e32 v7, v21, v2
	;; [unrolled: 1-line block ×4, first 2 shown]
	v_fmac_f32_e32 v31, v51, v40
	v_fma_f32 v38, v49, v43, -v4
	v_fma_f32 v2, v20, 2.0, -v6
	v_fma_f32 v4, v21, 2.0, -v7
	;; [unrolled: 1-line block ×4, first 2 shown]
	v_mul_f32_e32 v33, v50, v43
	v_sub_f32_e32 v0, v2, v1
	v_sub_f32_e32 v1, v4, v3
	;; [unrolled: 1-line block ×5, first 2 shown]
	v_fmac_f32_e32 v33, v49, v42
	v_fma_f32 v3, v4, 2.0, -v1
	v_add_f32_e32 v4, v6, v8
	v_sub_f32_e32 v20, v28, v34
	v_fma_f32 v8, v27, 2.0, -v21
	v_sub_f32_e32 v21, v29, v21
	v_fma_f32 v11, v23, 2.0, -v29
	v_fma_f32 v9, v28, 2.0, -v20
	v_add_f32_e32 v20, v26, v20
	v_fma_f32 v23, v29, 2.0, -v21
	v_sub_f32_e32 v30, v24, v37
	v_sub_f32_e32 v31, v25, v32
	;; [unrolled: 1-line block ×4, first 2 shown]
	v_fma_f32 v10, v22, 2.0, -v26
	v_fma_f32 v22, v26, 2.0, -v20
	;; [unrolled: 1-line block ×6, first 2 shown]
	v_sub_f32_e32 v5, v7, v5
	v_sub_f32_e32 v8, v10, v8
	;; [unrolled: 1-line block ×5, first 2 shown]
	v_add_f32_e32 v28, v30, v28
	v_sub_f32_e32 v29, v31, v29
	v_fma_f32 v2, v2, 2.0, -v0
	v_fma_f32 v6, v6, 2.0, -v4
	;; [unrolled: 1-line block ×9, first 2 shown]
	s_waitcnt lgkmcnt(0)
	; wave barrier
	ds_write2_b64 v73, v[2:3], v[6:7] offset1:13
	ds_write2_b64 v73, v[0:1], v[4:5] offset0:26 offset1:39
	ds_write2_b64 v74, v[10:11], v[22:23] offset1:13
	ds_write2_b64 v74, v[8:9], v[20:21] offset0:26 offset1:39
	;; [unrolled: 2-line block ×3, first 2 shown]
	s_waitcnt lgkmcnt(0)
	; wave barrier
	s_waitcnt lgkmcnt(0)
	ds_read2_b64 v[0:3], v70 offset1:26
	ds_read2_b64 v[4:7], v70 offset0:104 offset1:130
	ds_read2_b64 v[8:11], v70 offset0:208 offset1:234
	;; [unrolled: 1-line block ×5, first 2 shown]
	s_waitcnt lgkmcnt(4)
	v_mul_f32_e32 v32, v13, v5
	v_fmac_f32_e32 v32, v12, v4
	v_mul_f32_e32 v4, v13, v4
	v_fma_f32 v33, v12, v5, -v4
	s_waitcnt lgkmcnt(3)
	v_mul_f32_e32 v34, v15, v9
	v_mul_f32_e32 v4, v15, v8
	v_fmac_f32_e32 v34, v14, v8
	v_fma_f32 v8, v14, v9, -v4
	v_mul_f32_e32 v4, v17, v6
	v_fma_f32 v36, v16, v7, -v4
	v_mul_f32_e32 v4, v19, v10
	v_mul_f32_e32 v37, v19, v11
	v_fma_f32 v11, v18, v11, -v4
	s_waitcnt lgkmcnt(1)
	v_mul_f32_e32 v38, v13, v25
	v_mul_f32_e32 v4, v13, v24
	v_fmac_f32_e32 v38, v12, v24
	v_fma_f32 v24, v12, v25, -v4
	s_waitcnt lgkmcnt(0)
	v_mul_f32_e32 v25, v15, v29
	v_mul_f32_e32 v4, v15, v28
	v_fmac_f32_e32 v25, v14, v28
	v_fma_f32 v15, v14, v29, -v4
	v_mul_f32_e32 v28, v17, v27
	v_mul_f32_e32 v4, v17, v26
	v_fmac_f32_e32 v28, v16, v26
	v_fma_f32 v26, v16, v27, -v4
	v_mul_f32_e32 v4, v19, v30
	v_add_f32_e32 v5, v32, v34
	v_mul_f32_e32 v35, v17, v7
	v_fma_f32 v29, v18, v31, -v4
	v_add_f32_e32 v4, v0, v32
	v_fma_f32 v0, -0.5, v5, v0
	v_fmac_f32_e32 v35, v16, v6
	v_sub_f32_e32 v5, v33, v8
	v_mov_b32_e32 v6, v0
	v_add_f32_e32 v7, v33, v8
	v_fmac_f32_e32 v37, v18, v10
	v_fmac_f32_e32 v6, 0xbf5db3d7, v5
	;; [unrolled: 1-line block ×3, first 2 shown]
	v_add_f32_e32 v5, v1, v33
	v_fma_f32 v1, -0.5, v7, v1
	v_add_f32_e32 v13, v38, v25
	v_add_f32_e32 v5, v5, v8
	v_sub_f32_e32 v8, v32, v34
	v_mov_b32_e32 v7, v1
	v_add_f32_e32 v9, v35, v37
	v_fma_f32 v14, -0.5, v13, v20
	v_fmac_f32_e32 v7, 0x3f5db3d7, v8
	v_fmac_f32_e32 v1, 0xbf5db3d7, v8
	v_add_f32_e32 v8, v2, v35
	v_fma_f32 v2, -0.5, v9, v2
	v_sub_f32_e32 v13, v24, v15
	v_mov_b32_e32 v16, v14
	v_sub_f32_e32 v9, v36, v11
	v_mov_b32_e32 v10, v2
	v_fmac_f32_e32 v16, 0xbf5db3d7, v13
	v_fmac_f32_e32 v14, 0x3f5db3d7, v13
	v_add_f32_e32 v13, v21, v24
	v_mul_f32_e32 v27, v19, v31
	v_fmac_f32_e32 v10, 0xbf5db3d7, v9
	v_fmac_f32_e32 v2, 0x3f5db3d7, v9
	v_add_f32_e32 v9, v3, v36
	v_add_f32_e32 v13, v13, v15
	;; [unrolled: 1-line block ×3, first 2 shown]
	v_fmac_f32_e32 v27, v18, v30
	v_add_f32_e32 v9, v9, v11
	v_add_f32_e32 v11, v36, v11
	v_fma_f32 v15, -0.5, v15, v21
	v_fmac_f32_e32 v3, -0.5, v11
	v_sub_f32_e32 v18, v38, v25
	v_mov_b32_e32 v17, v15
	v_add_f32_e32 v19, v28, v27
	v_sub_f32_e32 v12, v35, v37
	v_mov_b32_e32 v11, v3
	v_fmac_f32_e32 v17, 0x3f5db3d7, v18
	v_fmac_f32_e32 v15, 0xbf5db3d7, v18
	v_add_f32_e32 v18, v22, v28
	v_fma_f32 v22, -0.5, v19, v22
	v_fmac_f32_e32 v11, 0x3f5db3d7, v12
	v_fmac_f32_e32 v3, 0xbf5db3d7, v12
	v_add_f32_e32 v12, v20, v38
	v_sub_f32_e32 v19, v26, v29
	v_mov_b32_e32 v20, v22
	v_add_f32_e32 v21, v26, v29
	v_fmac_f32_e32 v20, 0xbf5db3d7, v19
	v_fmac_f32_e32 v22, 0x3f5db3d7, v19
	v_add_f32_e32 v19, v23, v26
	v_fmac_f32_e32 v23, -0.5, v21
	v_sub_f32_e32 v24, v28, v27
	v_mov_b32_e32 v21, v23
	v_add_f32_e32 v4, v4, v34
	v_add_f32_e32 v8, v8, v37
	;; [unrolled: 1-line block ×5, first 2 shown]
	v_fmac_f32_e32 v21, 0x3f5db3d7, v24
	v_fmac_f32_e32 v23, 0xbf5db3d7, v24
	s_waitcnt lgkmcnt(0)
	; wave barrier
	ds_write2_b64 v70, v[4:5], v[8:9] offset1:26
	ds_write2_b64 v70, v[6:7], v[10:11] offset0:52 offset1:78
	ds_write2_b64 v70, v[0:1], v[2:3] offset0:104 offset1:130
	;; [unrolled: 1-line block ×5, first 2 shown]
	s_waitcnt lgkmcnt(0)
	; wave barrier
	s_waitcnt lgkmcnt(0)
	ds_read2_b64 v[0:3], v70 offset1:26
	ds_read2_b64 v[4:7], v70 offset0:156 offset1:182
	ds_read2_b64 v[8:11], v70 offset0:52 offset1:78
	;; [unrolled: 1-line block ×5, first 2 shown]
	s_waitcnt lgkmcnt(4)
	v_mul_f32_e32 v24, v54, v5
	v_fmac_f32_e32 v24, v53, v4
	v_mul_f32_e32 v4, v54, v4
	v_fma_f32 v5, v53, v5, -v4
	v_mul_f32_e32 v4, v56, v6
	v_mul_f32_e32 v25, v56, v7
	v_fma_f32 v7, v55, v7, -v4
	s_waitcnt lgkmcnt(2)
	v_mul_f32_e32 v4, v58, v12
	v_mul_f32_e32 v26, v58, v13
	v_fma_f32 v13, v57, v13, -v4
	v_mul_f32_e32 v4, v60, v14
	v_mul_f32_e32 v27, v60, v15
	v_fma_f32 v15, v59, v15, -v4
	s_waitcnt lgkmcnt(0)
	v_mul_f32_e32 v4, v62, v20
	v_fmac_f32_e32 v25, v55, v6
	v_mul_f32_e32 v28, v62, v21
	v_fma_f32 v21, v61, v21, -v4
	v_mul_f32_e32 v29, v64, v23
	v_mul_f32_e32 v4, v64, v22
	v_fmac_f32_e32 v26, v57, v12
	v_fmac_f32_e32 v27, v59, v14
	;; [unrolled: 1-line block ×4, first 2 shown]
	v_fma_f32 v23, v63, v23, -v4
	v_sub_f32_e32 v4, v0, v24
	v_sub_f32_e32 v5, v1, v5
	;; [unrolled: 1-line block ×4, first 2 shown]
	v_fma_f32 v0, v0, 2.0, -v4
	v_fma_f32 v1, v1, 2.0, -v5
	;; [unrolled: 1-line block ×4, first 2 shown]
	v_sub_f32_e32 v12, v8, v26
	v_sub_f32_e32 v13, v9, v13
	;; [unrolled: 1-line block ×8, first 2 shown]
	v_fma_f32 v8, v8, 2.0, -v12
	v_fma_f32 v9, v9, 2.0, -v13
	;; [unrolled: 1-line block ×8, first 2 shown]
	ds_write2_b64 v72, v[0:1], v[2:3] offset1:26
	ds_write2_b64 v72, v[4:5], v[6:7] offset0:156 offset1:182
	ds_write2_b64 v72, v[8:9], v[10:11] offset0:52 offset1:78
	;; [unrolled: 1-line block ×3, first 2 shown]
	ds_write_b64 v72, v[16:17] offset:832
	ds_write_b64 v77, v[20:21] offset:1248
	;; [unrolled: 1-line block ×4, first 2 shown]
	s_waitcnt lgkmcnt(0)
	; wave barrier
	s_waitcnt lgkmcnt(0)
	s_and_b64 exec, exec, vcc
	s_cbranch_execz .LBB0_15
; %bb.14:
	global_load_dwordx2 v[8:9], v66, s[12:13]
	global_load_dwordx2 v[10:11], v66, s[12:13] offset:192
	global_load_dwordx2 v[12:13], v66, s[12:13] offset:384
	global_load_dwordx2 v[14:15], v66, s[12:13] offset:576
	global_load_dwordx2 v[16:17], v66, s[12:13] offset:768
	ds_read_b64 v[20:21], v72
	global_load_dwordx2 v[24:25], v66, s[12:13] offset:960
	global_load_dwordx2 v[26:27], v66, s[12:13] offset:1152
	;; [unrolled: 1-line block ×4, first 2 shown]
	v_mad_u64_u32 v[18:19], s[0:1], s6, v44, 0
	v_mad_u64_u32 v[22:23], s[2:3], s4, v65, 0
	s_mul_i32 s3, s5, 0xc0
	s_mul_hi_u32 s6, s4, 0xc0
	s_add_i32 s3, s6, s3
	s_waitcnt lgkmcnt(0)
	v_mad_u64_u32 v[32:33], s[6:7], s7, v44, v[19:20]
	v_mov_b32_e32 v35, s15
	v_lshl_add_u32 v36, v67, 3, v71
	v_mov_b32_e32 v19, v32
	v_lshlrev_b64 v[18:19], 3, v[18:19]
	s_mul_i32 s2, s4, 0xc0
	v_add_co_u32_e32 v39, vcc, s14, v18
	v_addc_co_u32_e32 v40, vcc, v35, v19, vcc
	ds_read2_b64 v[0:3], v36 offset0:24 offset1:48
	ds_read2_b64 v[4:7], v36 offset0:72 offset1:96
	v_mov_b32_e32 v37, s3
	s_mov_b32 s0, 0x1a41a41a
	s_mov_b32 s1, 0x3f6a41a4
	v_mov_b32_e32 v38, s3
	s_mul_i32 s8, s5, 0x180
	s_waitcnt vmcnt(7) lgkmcnt(1)
	v_mul_f32_e32 v35, v1, v11
	v_mul_f32_e32 v11, v0, v11
	s_waitcnt vmcnt(3)
	v_mad_u64_u32 v[33:34], s[6:7], s5, v65, v[23:24]
	v_mov_b32_e32 v34, s3
	s_waitcnt lgkmcnt(0)
	v_mul_f32_e32 v41, v5, v15
	v_mov_b32_e32 v23, v33
	v_lshlrev_b64 v[22:23], 3, v[22:23]
	v_mul_f32_e32 v15, v4, v15
	v_add_co_u32_e32 v18, vcc, v39, v22
	v_addc_co_u32_e32 v19, vcc, v40, v23, vcc
	v_add_co_u32_e32 v22, vcc, s2, v18
	v_addc_co_u32_e32 v23, vcc, v19, v37, vcc
	;; [unrolled: 2-line block ×3, first 2 shown]
	v_mul_f32_e32 v34, v21, v9
	v_mul_f32_e32 v9, v20, v9
	;; [unrolled: 1-line block ×4, first 2 shown]
	v_fmac_f32_e32 v34, v20, v8
	v_fma_f32 v8, v8, v21, -v9
	v_fmac_f32_e32 v35, v0, v10
	v_fma_f32 v9, v10, v1, -v11
	;; [unrolled: 2-line block ×3, first 2 shown]
	v_cvt_f64_f32_e32 v[0:1], v34
	v_cvt_f64_f32_e32 v[2:3], v8
	v_fmac_f32_e32 v41, v4, v14
	v_fma_f32 v20, v14, v5, -v15
	v_cvt_f64_f32_e32 v[4:5], v35
	v_cvt_f64_f32_e32 v[8:9], v9
	;; [unrolled: 1-line block ×4, first 2 shown]
	v_mul_f64 v[0:1], v[0:1], s[0:1]
	v_mul_f64 v[2:3], v[2:3], s[0:1]
	;; [unrolled: 1-line block ×6, first 2 shown]
	v_cvt_f64_f32_e32 v[14:15], v41
	v_cvt_f64_f32_e32 v[20:21], v20
	v_cvt_f32_f64_e32 v0, v[0:1]
	v_cvt_f32_f64_e32 v1, v[2:3]
	v_mul_f32_e32 v42, v7, v17
	v_cvt_f32_f64_e32 v2, v[4:5]
	v_cvt_f32_f64_e32 v3, v[8:9]
	v_fmac_f32_e32 v42, v6, v16
	v_cvt_f32_f64_e32 v4, v[10:11]
	v_cvt_f32_f64_e32 v5, v[12:13]
	v_cvt_f64_f32_e32 v[34:35], v42
	v_mul_f64 v[14:15], v[14:15], s[0:1]
	v_mul_f64 v[20:21], v[20:21], s[0:1]
	global_store_dwordx2 v[18:19], v[0:1], off
	global_store_dwordx2 v[22:23], v[2:3], off
	;; [unrolled: 1-line block ×3, first 2 shown]
	v_mul_f32_e32 v2, v6, v17
	v_fma_f32 v2, v16, v7, -v2
	v_cvt_f64_f32_e32 v[2:3], v2
	v_mul_f64 v[0:1], v[34:35], s[0:1]
	v_add_co_u32_e32 v4, vcc, s2, v32
	v_mul_f64 v[6:7], v[2:3], s[0:1]
	v_cvt_f32_f64_e32 v8, v[14:15]
	v_cvt_f32_f64_e32 v9, v[20:21]
	v_or_b32_e32 v14, 0x60, v65
	v_addc_co_u32_e32 v5, vcc, v33, v38, vcc
	v_mad_u64_u32 v[10:11], s[6:7], s4, v14, 0
	global_store_dwordx2 v[4:5], v[8:9], off
	v_cvt_f32_f64_e32 v8, v[0:1]
	ds_read2_b64 v[0:3], v36 offset0:120 offset1:144
	global_load_dwordx2 v[12:13], v66, s[12:13] offset:1728
	v_cvt_f32_f64_e32 v9, v[6:7]
	v_mov_b32_e32 v6, v11
	v_mad_u64_u32 v[6:7], s[6:7], s5, v14, v[6:7]
	s_waitcnt lgkmcnt(0)
	v_mul_f32_e32 v7, v1, v25
	v_fmac_f32_e32 v7, v0, v24
	v_mul_f32_e32 v0, v0, v25
	v_fma_f32 v0, v24, v1, -v0
	v_cvt_f64_f32_e32 v[0:1], v0
	v_mov_b32_e32 v11, v6
	v_cvt_f64_f32_e32 v[14:15], v7
	v_lshlrev_b64 v[6:7], 3, v[10:11]
	v_mul_f64 v[0:1], v[0:1], s[0:1]
	v_add_co_u32_e32 v6, vcc, v39, v6
	v_addc_co_u32_e32 v7, vcc, v40, v7, vcc
	global_store_dwordx2 v[6:7], v[8:9], off
	global_load_dwordx2 v[6:7], v66, s[12:13] offset:1920
	v_mul_f64 v[10:11], v[14:15], s[0:1]
	global_load_dwordx2 v[14:15], v66, s[12:13] offset:2112
	v_cvt_f32_f64_e32 v9, v[0:1]
	s_waitcnt vmcnt(10)
	v_mul_f32_e32 v0, v3, v27
	v_fmac_f32_e32 v0, v2, v26
	v_cvt_f64_f32_e32 v[0:1], v0
	v_mov_b32_e32 v23, 0x180
	v_mad_u64_u32 v[4:5], s[6:7], s4, v23, v[4:5]
	v_cvt_f32_f64_e32 v8, v[10:11]
	v_mul_f64 v[10:11], v[0:1], s[0:1]
	v_mul_f32_e32 v0, v2, v27
	v_fma_f32 v0, v26, v3, -v0
	v_cvt_f64_f32_e32 v[16:17], v0
	ds_read2_b64 v[0:3], v36 offset0:168 offset1:192
	v_add_u32_e32 v5, s8, v5
	global_store_dwordx2 v[4:5], v[8:9], off
	v_mul_f64 v[8:9], v[16:17], s[0:1]
	v_cvt_f32_f64_e32 v10, v[10:11]
	s_waitcnt vmcnt(10) lgkmcnt(0)
	v_mul_f32_e32 v11, v1, v29
	v_fmac_f32_e32 v11, v0, v28
	v_cvt_f64_f32_e32 v[16:17], v11
	v_mul_f32_e32 v0, v0, v29
	v_fma_f32 v0, v28, v1, -v0
	v_cvt_f64_f32_e32 v[0:1], v0
	v_cvt_f32_f64_e32 v11, v[8:9]
	v_mul_f64 v[8:9], v[16:17], s[0:1]
	global_load_dwordx2 v[16:17], v66, s[12:13] offset:2304
	v_mul_f64 v[0:1], v[0:1], s[0:1]
	v_mov_b32_e32 v18, s3
	v_add_co_u32_e32 v4, vcc, s2, v4
	v_addc_co_u32_e32 v5, vcc, v5, v18, vcc
	v_cvt_f32_f64_e32 v8, v[8:9]
	global_store_dwordx2 v[4:5], v[10:11], off
	v_cvt_f32_f64_e32 v9, v[0:1]
	s_waitcnt vmcnt(11)
	v_mul_f32_e32 v0, v3, v31
	v_fmac_f32_e32 v0, v2, v30
	v_cvt_f64_f32_e32 v[0:1], v0
	v_mov_b32_e32 v10, s3
	v_add_co_u32_e32 v4, vcc, s2, v4
	v_mul_f64 v[0:1], v[0:1], s[0:1]
	v_mul_f32_e32 v2, v2, v31
	v_addc_co_u32_e32 v5, vcc, v5, v10, vcc
	v_fma_f32 v2, v30, v3, -v2
	global_store_dwordx2 v[4:5], v[8:9], off
	v_or_b32_e32 v19, 0xc0, v65
	v_cvt_f64_f32_e32 v[8:9], v2
	v_cvt_f32_f64_e32 v18, v[0:1]
	ds_read2_b64 v[0:3], v36 offset0:216 offset1:240
	v_mad_u64_u32 v[10:11], s[6:7], s4, v19, 0
	v_mul_f64 v[8:9], v[8:9], s[0:1]
	v_mad_u64_u32 v[4:5], s[6:7], s4, v23, v[4:5]
	s_waitcnt vmcnt(7)
	v_mad_u64_u32 v[20:21], s[6:7], s5, v19, v[11:12]
	s_waitcnt lgkmcnt(0)
	v_mul_f32_e32 v11, v1, v13
	v_fmac_f32_e32 v11, v0, v12
	v_mul_f32_e32 v0, v0, v13
	v_fma_f32 v0, v12, v1, -v0
	v_cvt_f64_f32_e32 v[21:22], v11
	v_cvt_f64_f32_e32 v[0:1], v0
	v_cvt_f32_f64_e32 v19, v[8:9]
	v_mov_b32_e32 v11, v20
	v_mul_f64 v[8:9], v[21:22], s[0:1]
	v_mul_f64 v[0:1], v[0:1], s[0:1]
	v_lshlrev_b64 v[10:11], 3, v[10:11]
	v_add_u32_e32 v5, s8, v5
	v_add_co_u32_e32 v10, vcc, v39, v10
	v_addc_co_u32_e32 v11, vcc, v40, v11, vcc
	v_cvt_f32_f64_e32 v8, v[8:9]
	v_cvt_f32_f64_e32 v9, v[0:1]
	s_waitcnt vmcnt(5)
	v_mul_f32_e32 v0, v3, v7
	v_fmac_f32_e32 v0, v2, v6
	global_store_dwordx2 v[10:11], v[18:19], off
	v_cvt_f64_f32_e32 v[10:11], v0
	v_mul_f32_e32 v0, v2, v7
	v_fma_f32 v0, v6, v3, -v0
	v_cvt_f64_f32_e32 v[6:7], v0
	v_add_u32_e32 v0, 0x800, v36
	ds_read2_b64 v[0:3], v0 offset0:8 offset1:32
	global_store_dwordx2 v[4:5], v[8:9], off
	v_mul_f64 v[8:9], v[10:11], s[0:1]
	v_mul_f64 v[6:7], v[6:7], s[0:1]
	v_add_co_u32_e32 v4, vcc, s2, v4
	s_waitcnt vmcnt(6) lgkmcnt(0)
	v_mul_f32_e32 v10, v1, v15
	v_fmac_f32_e32 v10, v0, v14
	v_mul_f32_e32 v0, v0, v15
	v_fma_f32 v0, v14, v1, -v0
	v_cvt_f64_f32_e32 v[10:11], v10
	v_cvt_f64_f32_e32 v[0:1], v0
	v_cvt_f32_f64_e32 v8, v[8:9]
	v_cvt_f32_f64_e32 v9, v[6:7]
	v_mul_f64 v[6:7], v[10:11], s[0:1]
	v_mul_f64 v[0:1], v[0:1], s[0:1]
	v_mov_b32_e32 v10, s3
	v_addc_co_u32_e32 v5, vcc, v5, v10, vcc
	v_or_b32_e32 v11, 0x120, v65
	global_store_dwordx2 v[4:5], v[8:9], off
	v_add_co_u32_e32 v4, vcc, s2, v4
	v_cvt_f32_f64_e32 v6, v[6:7]
	v_cvt_f32_f64_e32 v7, v[0:1]
	s_waitcnt vmcnt(5)
	v_mul_f32_e32 v0, v3, v17
	v_fmac_f32_e32 v0, v2, v16
	v_mul_f32_e32 v2, v2, v17
	v_fma_f32 v2, v16, v3, -v2
	v_cvt_f64_f32_e32 v[0:1], v0
	v_cvt_f64_f32_e32 v[2:3], v2
	v_addc_co_u32_e32 v5, vcc, v5, v10, vcc
	v_mul_f64 v[0:1], v[0:1], s[0:1]
	v_mul_f64 v[2:3], v[2:3], s[0:1]
	v_mad_u64_u32 v[8:9], s[0:1], s4, v11, 0
	global_store_dwordx2 v[4:5], v[6:7], off
	v_mad_u64_u32 v[9:10], s[0:1], s5, v11, v[9:10]
	v_cvt_f32_f64_e32 v0, v[0:1]
	v_cvt_f32_f64_e32 v1, v[2:3]
	v_lshlrev_b64 v[2:3], 3, v[8:9]
	v_add_co_u32_e32 v2, vcc, v39, v2
	v_addc_co_u32_e32 v3, vcc, v40, v3, vcc
	global_store_dwordx2 v[2:3], v[0:1], off
.LBB0_15:
	s_endpgm
	.section	.rodata,"a",@progbits
	.p2align	6, 0x0
	.amdhsa_kernel bluestein_single_fwd_len312_dim1_sp_op_CI_CI
		.amdhsa_group_segment_fixed_size 4992
		.amdhsa_private_segment_fixed_size 0
		.amdhsa_kernarg_size 104
		.amdhsa_user_sgpr_count 6
		.amdhsa_user_sgpr_private_segment_buffer 1
		.amdhsa_user_sgpr_dispatch_ptr 0
		.amdhsa_user_sgpr_queue_ptr 0
		.amdhsa_user_sgpr_kernarg_segment_ptr 1
		.amdhsa_user_sgpr_dispatch_id 0
		.amdhsa_user_sgpr_flat_scratch_init 0
		.amdhsa_user_sgpr_private_segment_size 0
		.amdhsa_uses_dynamic_stack 0
		.amdhsa_system_sgpr_private_segment_wavefront_offset 0
		.amdhsa_system_sgpr_workgroup_id_x 1
		.amdhsa_system_sgpr_workgroup_id_y 0
		.amdhsa_system_sgpr_workgroup_id_z 0
		.amdhsa_system_sgpr_workgroup_info 0
		.amdhsa_system_vgpr_workitem_id 0
		.amdhsa_next_free_vgpr 159
		.amdhsa_next_free_sgpr 16
		.amdhsa_reserve_vcc 1
		.amdhsa_reserve_flat_scratch 0
		.amdhsa_float_round_mode_32 0
		.amdhsa_float_round_mode_16_64 0
		.amdhsa_float_denorm_mode_32 3
		.amdhsa_float_denorm_mode_16_64 3
		.amdhsa_dx10_clamp 1
		.amdhsa_ieee_mode 1
		.amdhsa_fp16_overflow 0
		.amdhsa_exception_fp_ieee_invalid_op 0
		.amdhsa_exception_fp_denorm_src 0
		.amdhsa_exception_fp_ieee_div_zero 0
		.amdhsa_exception_fp_ieee_overflow 0
		.amdhsa_exception_fp_ieee_underflow 0
		.amdhsa_exception_fp_ieee_inexact 0
		.amdhsa_exception_int_div_zero 0
	.end_amdhsa_kernel
	.text
.Lfunc_end0:
	.size	bluestein_single_fwd_len312_dim1_sp_op_CI_CI, .Lfunc_end0-bluestein_single_fwd_len312_dim1_sp_op_CI_CI
                                        ; -- End function
	.section	.AMDGPU.csdata,"",@progbits
; Kernel info:
; codeLenInByte = 12760
; NumSgprs: 20
; NumVgprs: 159
; ScratchSize: 0
; MemoryBound: 0
; FloatMode: 240
; IeeeMode: 1
; LDSByteSize: 4992 bytes/workgroup (compile time only)
; SGPRBlocks: 2
; VGPRBlocks: 39
; NumSGPRsForWavesPerEU: 20
; NumVGPRsForWavesPerEU: 159
; Occupancy: 1
; WaveLimiterHint : 1
; COMPUTE_PGM_RSRC2:SCRATCH_EN: 0
; COMPUTE_PGM_RSRC2:USER_SGPR: 6
; COMPUTE_PGM_RSRC2:TRAP_HANDLER: 0
; COMPUTE_PGM_RSRC2:TGID_X_EN: 1
; COMPUTE_PGM_RSRC2:TGID_Y_EN: 0
; COMPUTE_PGM_RSRC2:TGID_Z_EN: 0
; COMPUTE_PGM_RSRC2:TIDIG_COMP_CNT: 0
	.type	__hip_cuid_cfa99f86a0d20543,@object ; @__hip_cuid_cfa99f86a0d20543
	.section	.bss,"aw",@nobits
	.globl	__hip_cuid_cfa99f86a0d20543
__hip_cuid_cfa99f86a0d20543:
	.byte	0                               ; 0x0
	.size	__hip_cuid_cfa99f86a0d20543, 1

	.ident	"AMD clang version 19.0.0git (https://github.com/RadeonOpenCompute/llvm-project roc-6.4.0 25133 c7fe45cf4b819c5991fe208aaa96edf142730f1d)"
	.section	".note.GNU-stack","",@progbits
	.addrsig
	.addrsig_sym __hip_cuid_cfa99f86a0d20543
	.amdgpu_metadata
---
amdhsa.kernels:
  - .args:
      - .actual_access:  read_only
        .address_space:  global
        .offset:         0
        .size:           8
        .value_kind:     global_buffer
      - .actual_access:  read_only
        .address_space:  global
        .offset:         8
        .size:           8
        .value_kind:     global_buffer
      - .actual_access:  read_only
        .address_space:  global
        .offset:         16
        .size:           8
        .value_kind:     global_buffer
      - .actual_access:  read_only
        .address_space:  global
        .offset:         24
        .size:           8
        .value_kind:     global_buffer
      - .actual_access:  read_only
        .address_space:  global
        .offset:         32
        .size:           8
        .value_kind:     global_buffer
      - .offset:         40
        .size:           8
        .value_kind:     by_value
      - .address_space:  global
        .offset:         48
        .size:           8
        .value_kind:     global_buffer
      - .address_space:  global
        .offset:         56
        .size:           8
        .value_kind:     global_buffer
      - .address_space:  global
        .offset:         64
        .size:           8
        .value_kind:     global_buffer
      - .address_space:  global
        .offset:         72
        .size:           8
        .value_kind:     global_buffer
      - .offset:         80
        .size:           4
        .value_kind:     by_value
      - .address_space:  global
        .offset:         88
        .size:           8
        .value_kind:     global_buffer
      - .address_space:  global
        .offset:         96
        .size:           8
        .value_kind:     global_buffer
    .group_segment_fixed_size: 4992
    .kernarg_segment_align: 8
    .kernarg_segment_size: 104
    .language:       OpenCL C
    .language_version:
      - 2
      - 0
    .max_flat_workgroup_size: 52
    .name:           bluestein_single_fwd_len312_dim1_sp_op_CI_CI
    .private_segment_fixed_size: 0
    .sgpr_count:     20
    .sgpr_spill_count: 0
    .symbol:         bluestein_single_fwd_len312_dim1_sp_op_CI_CI.kd
    .uniform_work_group_size: 1
    .uses_dynamic_stack: false
    .vgpr_count:     159
    .vgpr_spill_count: 0
    .wavefront_size: 64
amdhsa.target:   amdgcn-amd-amdhsa--gfx906
amdhsa.version:
  - 1
  - 2
...

	.end_amdgpu_metadata
